;; amdgpu-corpus repo=zjin-lcf/HeCBench kind=compiled arch=gfx942 opt=O3
	.text
	.amdgcn_target "amdgcn-amd-amdhsa--gfx942"
	.amdhsa_code_object_version 6
	.section	.text._Z24reshape_and_cache_kernelIfhL18Fp8KVCacheDataType1EEvPKT_S3_PT0_S5_PKliiiiiiff,"axG",@progbits,_Z24reshape_and_cache_kernelIfhL18Fp8KVCacheDataType1EEvPKT_S3_PT0_S5_PKliiiiiiff,comdat
	.protected	_Z24reshape_and_cache_kernelIfhL18Fp8KVCacheDataType1EEvPKT_S3_PT0_S5_PKliiiiiiff ; -- Begin function _Z24reshape_and_cache_kernelIfhL18Fp8KVCacheDataType1EEvPKT_S3_PT0_S5_PKliiiiiiff
	.globl	_Z24reshape_and_cache_kernelIfhL18Fp8KVCacheDataType1EEvPKT_S3_PT0_S5_PKliiiiiiff
	.p2align	8
	.type	_Z24reshape_and_cache_kernelIfhL18Fp8KVCacheDataType1EEvPKT_S3_PT0_S5_PKliiiiiiff,@function
_Z24reshape_and_cache_kernelIfhL18Fp8KVCacheDataType1EEvPKT_S3_PT0_S5_PKliiiiiiff: ; @_Z24reshape_and_cache_kernelIfhL18Fp8KVCacheDataType1EEvPKT_S3_PT0_S5_PKliiiiiiff
; %bb.0:
	s_load_dwordx2 s[4:5], s[0:1], 0x20
	s_mov_b32 s3, 0
	s_lshl_b64 s[6:7], s[2:3], 3
	s_waitcnt lgkmcnt(0)
	s_add_u32 s4, s4, s6
	s_addc_u32 s5, s5, s7
	s_load_dwordx2 s[36:37], s[4:5], 0x0
	s_waitcnt lgkmcnt(0)
	v_cmp_lt_i64_e64 s[4:5], s[36:37], 0
	s_and_b64 vcc, exec, s[4:5]
	s_cbranch_vccnz .LBB0_29
; %bb.1:
	s_load_dwordx8 s[8:15], s[0:1], 0x28
	s_waitcnt lgkmcnt(0)
	s_ashr_i32 s27, s12, 31
	s_mov_b32 s26, s12
	s_or_b64 s[4:5], s[36:37], s[26:27]
	s_mov_b32 s4, s3
	s_cmp_lg_u64 s[4:5], 0
	s_cbranch_scc0 .LBB0_30
; %bb.2:
	s_add_u32 s4, s26, s27
	s_mov_b32 s16, s27
	s_mov_b32 s17, s27
	s_addc_u32 s5, s27, s27
	s_xor_b64 s[18:19], s[4:5], s[16:17]
	v_cvt_f32_u32_e32 v1, s18
	v_cvt_f32_u32_e32 v2, s19
	s_sub_u32 s3, 0, s18
	s_subb_u32 s4, 0, s19
	v_fmamk_f32 v1, v2, 0x4f800000, v1
	v_rcp_f32_e32 v1, v1
	s_nop 0
	v_mul_f32_e32 v1, 0x5f7ffffc, v1
	v_mul_f32_e32 v2, 0x2f800000, v1
	v_trunc_f32_e32 v2, v2
	v_fmamk_f32 v1, v2, 0xcf800000, v1
	v_cvt_u32_f32_e32 v2, v2
	v_cvt_u32_f32_e32 v1, v1
	v_readfirstlane_b32 s5, v2
	v_readfirstlane_b32 s20, v1
	s_mul_i32 s21, s3, s5
	s_mul_hi_u32 s23, s3, s20
	s_mul_i32 s22, s4, s20
	s_add_i32 s21, s23, s21
	s_add_i32 s21, s21, s22
	s_mul_i32 s24, s3, s20
	s_mul_hi_u32 s22, s20, s21
	s_mul_i32 s23, s20, s21
	s_mul_hi_u32 s20, s20, s24
	s_add_u32 s20, s20, s23
	s_addc_u32 s22, 0, s22
	s_mul_hi_u32 s25, s5, s24
	s_mul_i32 s24, s5, s24
	s_add_u32 s20, s20, s24
	s_mul_hi_u32 s23, s5, s21
	s_addc_u32 s20, s22, s25
	s_addc_u32 s22, s23, 0
	s_mul_i32 s21, s5, s21
	s_add_u32 s20, s20, s21
	s_addc_u32 s21, 0, s22
	v_add_co_u32_e32 v1, vcc, s20, v1
	s_cmp_lg_u64 vcc, 0
	s_addc_u32 s5, s5, s21
	v_readfirstlane_b32 s21, v1
	s_mul_i32 s20, s3, s5
	s_mul_hi_u32 s22, s3, s21
	s_add_i32 s20, s22, s20
	s_mul_i32 s4, s4, s21
	s_add_i32 s20, s20, s4
	s_mul_i32 s3, s3, s21
	s_mul_hi_u32 s22, s5, s3
	s_mul_i32 s23, s5, s3
	s_mul_i32 s25, s21, s20
	s_mul_hi_u32 s3, s21, s3
	s_mul_hi_u32 s24, s21, s20
	s_add_u32 s3, s3, s25
	s_addc_u32 s21, 0, s24
	s_add_u32 s3, s3, s23
	s_mul_hi_u32 s4, s5, s20
	s_addc_u32 s3, s21, s22
	s_addc_u32 s4, s4, 0
	s_mul_i32 s20, s5, s20
	s_add_u32 s3, s3, s20
	s_addc_u32 s4, 0, s4
	v_add_co_u32_e32 v1, vcc, s3, v1
	s_cmp_lg_u64 vcc, 0
	s_addc_u32 s3, s5, s4
	s_ashr_i32 s20, s37, 31
	s_add_u32 s4, s36, s20
	s_mov_b32 s21, s20
	s_addc_u32 s5, s37, s20
	s_xor_b64 s[22:23], s[4:5], s[20:21]
	v_readfirstlane_b32 s24, v1
	s_mul_i32 s5, s22, s3
	s_mul_hi_u32 s25, s22, s24
	s_mul_hi_u32 s4, s22, s3
	s_add_u32 s5, s25, s5
	s_addc_u32 s4, 0, s4
	s_mul_hi_u32 s28, s23, s24
	s_mul_i32 s24, s23, s24
	s_add_u32 s5, s5, s24
	s_mul_hi_u32 s25, s23, s3
	s_addc_u32 s4, s4, s28
	s_addc_u32 s5, s25, 0
	s_mul_i32 s3, s23, s3
	s_add_u32 s3, s4, s3
	s_addc_u32 s24, 0, s5
	s_mul_i32 s4, s18, s24
	s_mul_hi_u32 s5, s18, s3
	s_add_i32 s4, s5, s4
	s_mul_i32 s5, s19, s3
	s_add_i32 s25, s4, s5
	s_mul_i32 s5, s18, s3
	v_mov_b32_e32 v1, s5
	s_sub_i32 s4, s23, s25
	v_sub_co_u32_e32 v1, vcc, s22, v1
	s_cmp_lg_u64 vcc, 0
	s_subb_u32 s22, s4, s19
	v_subrev_co_u32_e64 v2, s[4:5], s18, v1
	s_cmp_lg_u64 s[4:5], 0
	s_subb_u32 s4, s22, 0
	s_cmp_ge_u32 s4, s19
	v_readfirstlane_b32 s22, v2
	s_cselect_b32 s5, -1, 0
	s_cmp_ge_u32 s22, s18
	s_cselect_b32 s22, -1, 0
	s_cmp_eq_u32 s4, s19
	s_cselect_b32 s4, s22, s5
	s_add_u32 s5, s3, 1
	s_addc_u32 s22, s24, 0
	s_add_u32 s28, s3, 2
	s_addc_u32 s29, s24, 0
	s_cmp_lg_u32 s4, 0
	s_cselect_b32 s4, s28, s5
	s_cselect_b32 s5, s29, s22
	s_cmp_lg_u64 vcc, 0
	s_subb_u32 s22, s23, s25
	s_cmp_ge_u32 s22, s19
	v_readfirstlane_b32 s25, v1
	s_cselect_b32 s23, -1, 0
	s_cmp_ge_u32 s25, s18
	s_cselect_b32 s18, -1, 0
	s_cmp_eq_u32 s22, s19
	s_cselect_b32 s18, s18, s23
	s_cmp_lg_u32 s18, 0
	s_cselect_b32 s5, s5, s24
	s_cselect_b32 s4, s4, s3
	s_xor_b64 s[16:17], s[20:21], s[16:17]
	s_xor_b64 s[4:5], s[4:5], s[16:17]
	s_sub_u32 s4, s4, s16
	s_subb_u32 s5, s5, s17
	s_cbranch_execnz .LBB0_4
.LBB0_3:
	v_cvt_f32_u32_e32 v1, s26
	s_sub_i32 s3, 0, s26
	s_mov_b32 s5, 0
	v_rcp_iflag_f32_e32 v1, v1
	s_nop 0
	v_mul_f32_e32 v1, 0x4f7ffffe, v1
	v_cvt_u32_f32_e32 v1, v1
	s_nop 0
	v_readfirstlane_b32 s4, v1
	s_mul_i32 s3, s3, s4
	s_mul_hi_u32 s3, s4, s3
	s_add_i32 s4, s4, s3
	s_mul_hi_u32 s3, s36, s4
	s_mul_i32 s6, s3, s26
	s_sub_i32 s6, s36, s6
	s_add_i32 s4, s3, 1
	s_sub_i32 s7, s6, s26
	s_cmp_ge_u32 s6, s26
	s_cselect_b32 s3, s4, s3
	s_cselect_b32 s6, s7, s6
	s_add_i32 s4, s3, 1
	s_cmp_ge_u32 s6, s26
	s_cselect_b32 s4, s4, s3
.LBB0_4:
	s_abs_i32 s3, s13
	v_cvt_f32_u32_e32 v1, s3
	s_sub_i32 s17, 0, s3
	s_abs_i32 s16, s11
	s_xor_b32 s6, s11, s13
	v_rcp_iflag_f32_e32 v1, v1
	s_ashr_i32 s6, s6, 31
	s_mov_b32 s7, 0
	v_mul_f32_e32 v1, 0x4f7ffffe, v1
	v_cvt_u32_f32_e32 v1, v1
	s_nop 0
	v_readfirstlane_b32 s18, v1
	s_mul_i32 s17, s17, s18
	s_mul_hi_u32 s17, s18, s17
	s_add_i32 s18, s18, s17
	s_mul_hi_u32 s17, s16, s18
	s_mul_i32 s18, s17, s3
	s_sub_i32 s16, s16, s18
	s_add_i32 s19, s17, 1
	s_sub_i32 s18, s16, s3
	s_cmp_ge_u32 s16, s3
	s_cselect_b32 s17, s19, s17
	s_cselect_b32 s16, s18, s16
	s_add_i32 s18, s17, 1
	s_cmp_ge_u32 s16, s3
	s_cselect_b32 s3, s18, s17
	s_xor_b32 s3, s3, s6
	s_sub_i32 s33, s3, s6
	s_mul_i32 s46, s33, s10
	v_cmp_gt_i32_e32 vcc, s46, v0
	s_and_saveexec_b64 s[16:17], vcc
	s_cbranch_execz .LBB0_29
; %bb.5:
	s_mul_i32 s3, s4, s27
	s_mul_hi_u32 s6, s4, s26
	s_add_i32 s3, s6, s3
	s_mul_i32 s6, s5, s26
	s_add_i32 s3, s3, s6
	s_mul_i32 s6, s4, s26
	s_load_dwordx8 s[16:23], s[0:1], 0x0
	s_sub_u32 s24, s36, s6
	s_subb_u32 s25, s37, s3
	s_ashr_i32 s27, s8, 31
	s_mul_hi_u32 s28, s8, s2
	s_mul_i32 s27, s27, s2
	s_add_i32 s29, s28, s27
	s_mul_i32 s28, s8, s2
	s_lshl_b64 s[28:29], s[28:29], 2
	s_waitcnt lgkmcnt(0)
	s_add_u32 s16, s16, s28
	s_mul_i32 s5, s46, s5
	s_mul_hi_u32 s27, s46, s4
	s_mul_hi_i32 s38, s10, s33
	s_addc_u32 s17, s17, s29
	s_add_i32 s5, s27, s5
	s_mul_i32 s10, s38, s4
	s_add_i32 s5, s5, s10
	s_mul_i32 s4, s46, s4
	s_mul_hi_i32 s10, s13, s26
	s_mul_i32 s26, s13, s26
	s_mul_hi_u32 s27, s26, s4
	s_mul_i32 s5, s26, s5
	s_add_i32 s5, s27, s5
	s_mul_i32 s10, s10, s4
	s_ashr_i32 s8, s9, 31
	s_ashr_i32 s39, s13, 31
	s_add_i32 s30, s5, s10
	s_and_b32 s10, s13, 3
	s_cmp_eq_u32 s10, 0
	s_mul_i32 s31, s26, s4
	s_cselect_b64 s[4:5], -1, 0
	s_cmp_lg_u32 s10, 0
	s_cselect_b64 s[26:27], -1, 0
	s_ashr_i32 s47, s13, 2
	s_load_dword s0, s[0:1], 0x54
	s_cmp_gt_i32 s47, 0
	s_cselect_b64 s[28:29], -1, 0
	s_add_u32 s22, s22, s31
	s_addc_u32 s23, s23, s30
	s_cmp_gt_i32 s13, 0
	s_cselect_b64 s[30:31], -1, 0
	s_waitcnt lgkmcnt(0)
	s_and_b32 s48, s0, 0xffff
	s_cmp_gt_u32 s13, 3
	s_cselect_b64 s[34:35], -1, 0
	s_abs_i32 s49, s33
	v_cvt_f32_u32_e32 v1, s49
	s_and_b32 s51, s13, 0x7ffffffc
	s_ashr_i32 s52, s33, 31
	s_sub_i32 s0, 0, s49
	v_rcp_iflag_f32_e32 v1, v1
	s_mul_i32 s8, s8, s2
	s_mul_i32 s50, s13, s12
	v_mov_b32_e32 v7, 0
	v_mul_f32_e32 v1, 0x4f7ffffe, v1
	v_cvt_u32_f32_e32 v1, v1
	s_mul_i32 s55, s12, 3
	s_mov_b32 s58, 0x7f800000
	s_mov_b32 s59, 0x43700000
	v_mul_lo_u32 v2, s0, v1
	s_add_u32 s0, s46, -1
	s_addc_u32 s1, s38, -1
	s_mul_i32 s1, s6, s1
	s_mul_hi_u32 s38, s6, s0
	s_mul_i32 s3, s3, s0
	s_add_i32 s1, s38, s1
	s_add_i32 s1, s1, s3
	s_mul_i32 s6, s6, s0
	s_add_u32 s0, s36, s6
	s_addc_u32 s1, s37, s1
	s_mul_i32 s3, s0, s39
	s_mul_hi_u32 s6, s0, s13
	s_add_i32 s3, s6, s3
	s_mul_i32 s1, s1, s13
	s_add_i32 s3, s3, s1
	s_mul_i32 s0, s0, s13
	s_add_u32 s20, s20, s0
	s_addc_u32 s21, s21, s3
	s_add_u32 s36, s16, 8
	s_mul_hi_u32 s0, s9, s2
	s_addc_u32 s37, s17, 0
	s_add_i32 s1, s0, s8
	s_mul_i32 s0, s9, s2
	s_lshl_b32 s53, s12, 2
	s_lshl_b32 s54, s12, 1
	s_lshl_b64 s[0:1], s[0:1], 2
	s_add_u32 s56, s18, s0
	s_addc_u32 s57, s19, s1
	v_mul_hi_u32 v2, v1, v2
	s_add_u32 s8, s56, 8
	v_add_u32_e32 v1, v1, v2
	s_addc_u32 s9, s57, 0
	s_mov_b64 s[18:19], 0
	s_xor_b64 s[38:39], s[4:5], -1
	s_mov_b32 s60, 0x4020c0c
	v_mov_b32_e32 v22, 0xc3700000
	s_branch .LBB0_7
.LBB0_6:                                ;   in Loop: Header=BB0_7 Depth=1
	v_add_u32_e32 v0, s48, v0
	v_cmp_le_i32_e32 vcc, s46, v0
	s_or_b64 s[18:19], vcc, s[18:19]
	s_andn2_b64 exec, exec, s[18:19]
	s_cbranch_execz .LBB0_29
.LBB0_7:                                ; =>This Loop Header: Depth=1
                                        ;     Child Loop BB0_10 Depth 2
                                        ;     Child Loop BB0_13 Depth 2
                                        ;     Child Loop BB0_16 Depth 2
                                        ;     Child Loop BB0_21 Depth 2
                                        ;     Child Loop BB0_25 Depth 2
                                        ;     Child Loop BB0_28 Depth 2
	v_sub_u32_e32 v3, 0, v0
	v_max_i32_e32 v3, v0, v3
	v_mul_hi_u32 v4, v3, v1
	v_mul_lo_u32 v5, v4, s49
	v_sub_u32_e32 v3, v3, v5
	v_add_u32_e32 v5, 1, v4
	v_cmp_le_u32_e32 vcc, s49, v3
	v_ashrrev_i32_e32 v2, 31, v0
	v_xor_b32_e32 v2, s52, v2
	v_cndmask_b32_e32 v4, v4, v5, vcc
	v_subrev_u32_e32 v5, s49, v3
	v_cndmask_b32_e32 v3, v3, v5, vcc
	v_add_u32_e32 v5, 1, v4
	v_cmp_le_u32_e32 vcc, s49, v3
	s_nop 1
	v_cndmask_b32_e32 v3, v4, v5, vcc
	v_xor_b32_e32 v3, v3, v2
	v_sub_u32_e32 v2, v3, v2
	v_mul_lo_u32 v4, v2, s33
	v_sub_u32_e32 v5, v0, v4
	v_mul_lo_u32 v8, v2, s11
	v_ashrrev_i32_e32 v9, 31, v8
	v_mul_lo_u32 v10, v5, s13
	v_lshl_add_u64 v[2:3], v[8:9], 2, s[16:17]
	v_ashrrev_i32_e32 v11, 31, v10
	v_lshl_add_u64 v[2:3], v[10:11], 2, v[2:3]
	v_and_b32_e32 v6, 15, v2
	v_mul_lo_u32 v12, v4, s50
	v_mul_lo_u32 v14, s50, v5
	v_cmp_ne_u64_e32 vcc, 0, v[6:7]
	v_ashrrev_i32_e32 v13, 31, v12
	v_ashrrev_i32_e32 v15, 31, v14
	s_or_b64 s[0:1], s[38:39], vcc
	s_and_saveexec_b64 s[2:3], s[0:1]
	s_xor_b64 s[40:41], exec, s[2:3]
	s_cbranch_execz .LBB0_18
; %bb.8:                                ;   in Loop: Header=BB0_7 Depth=1
	v_sub_u32_e32 v4, 0, v2
	v_bfe_u32 v4, v4, 2, 2
	v_min_i32_e32 v16, s13, v4
	v_cmp_lt_i32_e32 vcc, 0, v16
	s_and_saveexec_b64 s[0:1], vcc
	s_cbranch_execz .LBB0_11
; %bb.9:                                ;   in Loop: Header=BB0_7 Depth=1
	v_lshl_add_u64 v[4:5], v[12:13], 0, v[14:15]
	v_lshl_add_u64 v[4:5], s[20:21], 0, v[4:5]
	s_mov_b64 s[2:3], 0
	v_mov_b64_e32 v[18:19], v[2:3]
	v_mov_b32_e32 v6, v16
.LBB0_10:                               ;   Parent Loop BB0_7 Depth=1
                                        ; =>  This Inner Loop Header: Depth=2
	global_load_dword v17, v[18:19], off
	v_mov_b32_e32 v20, 0
	v_add_u32_e32 v6, -1, v6
	v_lshl_add_u64 v[18:19], v[18:19], 0, 4
	s_waitcnt vmcnt(0)
	v_div_scale_f32 v21, s[4:5], s14, s14, v17
	v_rcp_f32_e32 v24, v21
	v_div_scale_f32 v23, vcc, v17, s14, v17
	v_fma_f32 v25, -v21, v24, 1.0
	v_fmac_f32_e32 v24, v25, v24
	v_mul_f32_e32 v25, v23, v24
	v_fma_f32 v26, -v21, v25, v23
	v_fmac_f32_e32 v25, v26, v24
	v_fma_f32 v21, -v21, v25, v23
	v_div_fmas_f32 v21, v21, v24, v25
	v_div_fixup_f32 v17, v21, s14, v17
	v_med3_f32 v21, v17, s59, v22
	v_cmp_nlg_f32_e64 vcc, |v17|, s58
	s_nop 1
	v_cndmask_b32_e32 v17, v21, v17, vcc
	v_cvt_pk_fp8_f32 v20, v17, v17
	v_cmp_eq_u32_e32 vcc, 0, v6
	s_or_b64 s[2:3], vcc, s[2:3]
	global_store_byte v[4:5], v20, off
	v_lshl_add_u64 v[4:5], v[4:5], 0, 1
	s_andn2_b64 exec, exec, s[2:3]
	s_cbranch_execnz .LBB0_10
.LBB0_11:                               ;   in Loop: Header=BB0_7 Depth=1
	s_or_b64 exec, exec, s[0:1]
	v_sub_u32_e32 v6, s13, v16
	v_ashrrev_i32_e32 v4, 31, v6
	v_lshrrev_b32_e32 v4, 30, v4
	v_add_u32_e32 v4, v6, v4
	v_ashrrev_i32_e32 v17, 31, v16
	v_ashrrev_i32_e32 v23, 2, v4
	v_cmp_lt_i32_e32 vcc, 3, v6
	s_and_saveexec_b64 s[42:43], vcc
	s_cbranch_execz .LBB0_14
; %bb.12:                               ;   in Loop: Header=BB0_7 Depth=1
	v_lshl_add_u64 v[18:19], v[16:17], 2, v[2:3]
	v_lshl_add_u64 v[2:3], v[16:17], 0, v[12:13]
	;; [unrolled: 1-line block ×4, first 2 shown]
	s_mov_b64 s[44:45], 0
	v_mov_b32_e32 v24, v23
.LBB0_13:                               ;   Parent Loop BB0_7 Depth=1
                                        ; =>  This Inner Loop Header: Depth=2
	global_load_dwordx4 v[2:5], v[18:19], off
	v_add_u32_e32 v24, -1, v24
	v_cmp_eq_u32_e32 vcc, 0, v24
	s_or_b64 s[44:45], vcc, s[44:45]
	v_mov_b32_e32 v25, 0
	v_mov_b32_e32 v26, 0
	;; [unrolled: 1-line block ×4, first 2 shown]
	v_lshl_add_u64 v[18:19], v[18:19], 0, 16
	s_waitcnt vmcnt(0)
	v_div_scale_f32 v29, s[0:1], s14, s14, v2
	v_div_scale_f32 v31, s[0:1], s14, s14, v3
	v_rcp_f32_e32 v37, v29
	v_div_scale_f32 v33, s[2:3], s14, s14, v4
	v_rcp_f32_e32 v38, v31
	v_rcp_f32_e32 v39, v33
	v_div_scale_f32 v35, s[4:5], s14, s14, v5
	v_rcp_f32_e32 v40, v35
	v_fma_f32 v41, -v29, v37, 1.0
	v_div_scale_f32 v30, vcc, v2, s14, v2
	v_fma_f32 v42, -v31, v38, 1.0
	v_fmac_f32_e32 v37, v41, v37
	v_div_scale_f32 v32, s[0:1], v3, s14, v3
	v_fma_f32 v43, -v33, v39, 1.0
	v_fmac_f32_e32 v38, v42, v38
	v_mul_f32_e32 v41, v30, v37
	v_div_scale_f32 v34, s[2:3], v4, s14, v4
	v_fmac_f32_e32 v39, v43, v39
	v_mul_f32_e32 v42, v32, v38
	v_fma_f32 v45, -v29, v41, v30
	v_fma_f32 v44, -v35, v40, 1.0
	v_mul_f32_e32 v43, v34, v39
	v_fma_f32 v46, -v31, v42, v32
	v_fmac_f32_e32 v41, v45, v37
	v_div_scale_f32 v36, s[4:5], v5, s14, v5
	v_fmac_f32_e32 v40, v44, v40
	v_fma_f32 v47, -v33, v43, v34
	v_fmac_f32_e32 v42, v46, v38
	v_fma_f32 v29, -v29, v41, v30
	v_mul_f32_e32 v44, v36, v40
	v_fmac_f32_e32 v43, v47, v39
	v_fma_f32 v30, -v31, v42, v32
	v_div_fmas_f32 v29, v29, v37, v41
	s_mov_b64 vcc, s[0:1]
	v_fma_f32 v48, -v35, v44, v36
	v_fma_f32 v31, -v33, v43, v34
	v_div_fixup_f32 v2, v29, s14, v2
	v_div_fmas_f32 v29, v30, v38, v42
	s_mov_b64 vcc, s[2:3]
	v_fmac_f32_e32 v44, v48, v40
	v_med3_f32 v30, v2, s59, v22
	v_div_fixup_f32 v3, v29, s14, v3
	v_div_fmas_f32 v29, v31, v39, v43
	v_cmp_nlg_f32_e64 vcc, |v2|, s58
	v_fma_f32 v32, -v35, v44, v36
	v_div_fixup_f32 v4, v29, s14, v4
	v_cndmask_b32_e32 v2, v30, v2, vcc
	s_mov_b64 vcc, s[4:5]
	v_med3_f32 v30, v3, s59, v22
	v_div_fmas_f32 v29, v32, v40, v44
	v_cmp_nlg_f32_e64 vcc, |v3|, s58
	v_cvt_pk_fp8_f32 v25, v2, v2
	v_div_fixup_f32 v5, v29, s14, v5
	v_cndmask_b32_e32 v2, v30, v3, vcc
	v_med3_f32 v3, v4, s59, v22
	v_cmp_nlg_f32_e64 vcc, |v4|, s58
	v_cvt_pk_fp8_f32 v26, v2, v2
	s_nop 0
	v_cndmask_b32_e32 v2, v3, v4, vcc
	v_med3_f32 v3, v5, s59, v22
	v_cmp_nlg_f32_e64 vcc, |v5|, s58
	v_cvt_pk_fp8_f32 v27, v2, v2
	v_lshlrev_b32_e32 v4, 16, v27
	v_cndmask_b32_e32 v2, v3, v5, vcc
	v_cvt_pk_fp8_f32 v28, v2, v2
	v_lshlrev_b32_e32 v3, 8, v26
	v_and_b32_e32 v2, 0xff, v25
	v_and_b32_e32 v3, 0xff00, v3
	v_perm_b32 v4, v28, v4, s60
	v_or3_b32 v2, v4, v3, v2
	global_store_dword v[20:21], v2, off
	v_lshl_add_u64 v[20:21], v[20:21], 0, 4
	s_andn2_b64 exec, exec, s[44:45]
	s_cbranch_execnz .LBB0_13
.LBB0_14:                               ;   in Loop: Header=BB0_7 Depth=1
	s_or_b64 exec, exec, s[42:43]
	v_lshlrev_b32_e32 v2, 2, v23
	v_cmp_lt_i32_e32 vcc, v2, v6
	s_and_saveexec_b64 s[0:1], vcc
	s_cbranch_execz .LBB0_17
; %bb.15:                               ;   in Loop: Header=BB0_7 Depth=1
	v_lshlrev_b64 v[4:5], 2, v[10:11]
	v_lshl_add_u64 v[4:5], v[16:17], 2, v[4:5]
	v_lshl_add_u64 v[16:17], v[16:17], 0, v[12:13]
	;; [unrolled: 1-line block ×3, first 2 shown]
	v_ashrrev_i32_e32 v3, 31, v2
	v_lshl_add_u64 v[14:15], v[16:17], 0, v[14:15]
	v_lshl_add_u64 v[4:5], v[2:3], 2, v[4:5]
	;; [unrolled: 1-line block ×5, first 2 shown]
	s_mov_b64 s[2:3], 0
.LBB0_16:                               ;   Parent Loop BB0_7 Depth=1
                                        ; =>  This Inner Loop Header: Depth=2
	global_load_dword v3, v[4:5], off
	v_mov_b32_e32 v16, 0
	v_add_u32_e32 v2, 1, v2
	v_lshl_add_u64 v[4:5], v[4:5], 0, 4
	s_waitcnt vmcnt(0)
	v_div_scale_f32 v17, s[4:5], s14, s14, v3
	v_rcp_f32_e32 v19, v17
	v_div_scale_f32 v18, vcc, v3, s14, v3
	v_fma_f32 v20, -v17, v19, 1.0
	v_fmac_f32_e32 v19, v20, v19
	v_mul_f32_e32 v20, v18, v19
	v_fma_f32 v21, -v17, v20, v18
	v_fmac_f32_e32 v20, v21, v19
	v_fma_f32 v17, -v17, v20, v18
	v_div_fmas_f32 v17, v17, v19, v20
	v_div_fixup_f32 v3, v17, s14, v3
	v_med3_f32 v17, v3, s59, v22
	v_cmp_nlg_f32_e64 vcc, |v3|, s58
	s_nop 1
	v_cndmask_b32_e32 v3, v17, v3, vcc
	v_cvt_pk_fp8_f32 v16, v3, v3
	v_cmp_ge_i32_e32 vcc, v2, v6
	s_or_b64 s[2:3], vcc, s[2:3]
	global_store_byte v[14:15], v16, off
	v_lshl_add_u64 v[14:15], v[14:15], 0, 1
	s_andn2_b64 exec, exec, s[2:3]
	s_cbranch_execnz .LBB0_16
.LBB0_17:                               ;   in Loop: Header=BB0_7 Depth=1
	s_or_b64 exec, exec, s[0:1]
                                        ; implicit-def: $vgpr14_vgpr15
.LBB0_18:                               ;   in Loop: Header=BB0_7 Depth=1
	s_andn2_saveexec_b64 s[40:41], s[40:41]
	s_cbranch_execz .LBB0_22
; %bb.19:                               ;   in Loop: Header=BB0_7 Depth=1
	s_andn2_b64 vcc, exec, s[28:29]
	s_cbranch_vccnz .LBB0_22
; %bb.20:                               ;   in Loop: Header=BB0_7 Depth=1
	v_lshl_add_u64 v[2:3], v[12:13], 0, v[14:15]
	v_lshl_add_u64 v[14:15], s[20:21], 0, v[2:3]
	v_lshlrev_b64 v[2:3], 2, v[8:9]
	v_lshl_add_u64 v[2:3], v[10:11], 2, v[2:3]
	v_lshl_add_u64 v[16:17], s[36:37], 0, v[2:3]
	s_mov_b32 s6, s47
.LBB0_21:                               ;   Parent Loop BB0_7 Depth=1
                                        ; =>  This Inner Loop Header: Depth=2
	global_load_dwordx4 v[2:5], v[16:17], off offset:-8
	v_mov_b32_e32 v6, 0
	v_mov_b32_e32 v18, 0
	;; [unrolled: 1-line block ×4, first 2 shown]
	s_add_i32 s6, s6, -1
	v_lshl_add_u64 v[16:17], v[16:17], 0, 16
	s_cmp_eq_u32 s6, 0
	s_waitcnt vmcnt(0)
	v_div_scale_f32 v21, s[0:1], s14, s14, v2
	v_div_scale_f32 v24, s[0:1], s14, s14, v3
	v_rcp_f32_e32 v30, v21
	v_div_scale_f32 v26, s[2:3], s14, s14, v4
	v_rcp_f32_e32 v31, v24
	v_rcp_f32_e32 v32, v26
	v_div_scale_f32 v28, s[4:5], s14, s14, v5
	v_rcp_f32_e32 v33, v28
	v_fma_f32 v34, -v21, v30, 1.0
	v_div_scale_f32 v23, vcc, v2, s14, v2
	v_fma_f32 v35, -v24, v31, 1.0
	v_fmac_f32_e32 v30, v34, v30
	v_div_scale_f32 v25, s[0:1], v3, s14, v3
	v_fma_f32 v36, -v26, v32, 1.0
	v_fmac_f32_e32 v31, v35, v31
	v_mul_f32_e32 v34, v23, v30
	v_div_scale_f32 v27, s[2:3], v4, s14, v4
	v_fmac_f32_e32 v32, v36, v32
	v_mul_f32_e32 v35, v25, v31
	v_fma_f32 v38, -v21, v34, v23
	v_fma_f32 v37, -v28, v33, 1.0
	v_mul_f32_e32 v36, v27, v32
	v_fma_f32 v39, -v24, v35, v25
	v_fmac_f32_e32 v34, v38, v30
	v_div_scale_f32 v29, s[4:5], v5, s14, v5
	v_fmac_f32_e32 v33, v37, v33
	v_fma_f32 v40, -v26, v36, v27
	v_fmac_f32_e32 v35, v39, v31
	v_fma_f32 v21, -v21, v34, v23
	v_mul_f32_e32 v37, v29, v33
	v_fmac_f32_e32 v36, v40, v32
	v_fma_f32 v23, -v24, v35, v25
	v_div_fmas_f32 v21, v21, v30, v34
	s_mov_b64 vcc, s[0:1]
	v_fma_f32 v41, -v28, v37, v29
	v_fma_f32 v24, -v26, v36, v27
	v_div_fixup_f32 v2, v21, s14, v2
	v_div_fmas_f32 v21, v23, v31, v35
	s_mov_b64 vcc, s[2:3]
	v_fmac_f32_e32 v37, v41, v33
	v_med3_f32 v23, v2, s59, v22
	v_div_fixup_f32 v3, v21, s14, v3
	v_div_fmas_f32 v21, v24, v32, v36
	v_cmp_nlg_f32_e64 vcc, |v2|, s58
	v_fma_f32 v25, -v28, v37, v29
	v_div_fixup_f32 v4, v21, s14, v4
	v_cndmask_b32_e32 v2, v23, v2, vcc
	s_mov_b64 vcc, s[4:5]
	v_med3_f32 v23, v3, s59, v22
	v_div_fmas_f32 v21, v25, v33, v37
	v_cmp_nlg_f32_e64 vcc, |v3|, s58
	v_cvt_pk_fp8_f32 v6, v2, v2
	v_div_fixup_f32 v5, v21, s14, v5
	v_cndmask_b32_e32 v2, v23, v3, vcc
	v_med3_f32 v3, v4, s59, v22
	v_cmp_nlg_f32_e64 vcc, |v4|, s58
	v_cvt_pk_fp8_f32 v18, v2, v2
	s_nop 0
	v_cndmask_b32_e32 v2, v3, v4, vcc
	v_med3_f32 v3, v5, s59, v22
	v_cmp_nlg_f32_e64 vcc, |v5|, s58
	v_cvt_pk_fp8_f32 v19, v2, v2
	v_lshlrev_b32_e32 v4, 16, v19
	v_cndmask_b32_e32 v2, v3, v5, vcc
	v_cvt_pk_fp8_f32 v20, v2, v2
	v_lshlrev_b32_e32 v3, 8, v18
	v_and_b32_e32 v2, 0xff, v6
	v_and_b32_e32 v3, 0xff00, v3
	v_perm_b32 v4, v20, v4, s60
	v_or3_b32 v2, v4, v3, v2
	global_store_dword v[14:15], v2, off
	v_lshl_add_u64 v[14:15], v[14:15], 0, 4
	s_cbranch_scc0 .LBB0_21
.LBB0_22:                               ;   in Loop: Header=BB0_7 Depth=1
	s_or_b64 exec, exec, s[40:41]
	s_andn2_b64 vcc, exec, s[30:31]
	s_cbranch_vccnz .LBB0_6
; %bb.23:                               ;   in Loop: Header=BB0_7 Depth=1
	v_mul_lo_u32 v2, v10, s12
	v_ashrrev_i32_e32 v3, 31, v2
	v_lshl_add_u64 v[4:5], s[22:23], 0, v[12:13]
	v_lshl_add_u64 v[2:3], v[4:5], 0, v[2:3]
	;; [unrolled: 1-line block ×3, first 2 shown]
	v_lshlrev_b64 v[2:3], 2, v[8:9]
	s_mov_b32 s6, 0
	s_andn2_b64 vcc, exec, s[34:35]
	v_lshl_add_u64 v[8:9], v[10:11], 2, v[2:3]
	s_cbranch_vccnz .LBB0_26
; %bb.24:                               ;   in Loop: Header=BB0_7 Depth=1
	v_lshl_add_u64 v[10:11], s[8:9], 0, v[8:9]
	s_mov_b32 s40, 0
	s_mov_b32 s42, 0
.LBB0_25:                               ;   Parent Loop BB0_7 Depth=1
                                        ; =>  This Inner Loop Header: Depth=2
	global_load_dwordx4 v[2:5], v[10:11], off offset:-8
	s_add_i32 s0, s12, s40
	s_ashr_i32 s1, s0, 31
	s_add_i32 s2, s54, s40
	v_lshl_add_u64 v[16:17], v[12:13], 0, s[0:1]
	s_ashr_i32 s3, s2, 31
	s_add_i32 s4, s55, s40
	v_lshl_add_u64 v[18:19], v[12:13], 0, s[2:3]
	s_ashr_i32 s5, s4, 31
	v_lshl_add_u64 v[20:21], v[12:13], 0, s[4:5]
	v_mov_b32_e32 v6, 0
	v_mov_b32_e32 v23, 0
	s_ashr_i32 s41, s40, 31
	v_mov_b32_e32 v24, 0
	v_mov_b32_e32 v25, 0
	s_add_i32 s42, s42, 4
	v_lshl_add_u64 v[14:15], v[12:13], 0, s[40:41]
	s_add_i32 s40, s40, s53
	v_lshl_add_u64 v[10:11], v[10:11], 0, 16
	s_mov_b32 s6, s51
	s_cmp_eq_u32 s51, s42
	s_waitcnt vmcnt(0)
	v_div_scale_f32 v26, s[0:1], s15, s15, v2
	v_div_scale_f32 v28, s[0:1], s15, s15, v3
	v_rcp_f32_e32 v34, v26
	v_div_scale_f32 v30, s[2:3], s15, s15, v4
	v_rcp_f32_e32 v35, v28
	v_rcp_f32_e32 v36, v30
	v_div_scale_f32 v32, s[4:5], s15, s15, v5
	v_rcp_f32_e32 v37, v32
	v_fma_f32 v38, -v26, v34, 1.0
	v_div_scale_f32 v27, vcc, v2, s15, v2
	v_fma_f32 v39, -v28, v35, 1.0
	v_fmac_f32_e32 v34, v38, v34
	v_div_scale_f32 v29, s[0:1], v3, s15, v3
	v_fma_f32 v40, -v30, v36, 1.0
	v_fmac_f32_e32 v35, v39, v35
	v_mul_f32_e32 v38, v27, v34
	v_div_scale_f32 v31, s[2:3], v4, s15, v4
	v_fmac_f32_e32 v36, v40, v36
	v_mul_f32_e32 v39, v29, v35
	v_fma_f32 v42, -v26, v38, v27
	v_fma_f32 v41, -v32, v37, 1.0
	v_mul_f32_e32 v40, v31, v36
	v_fma_f32 v43, -v28, v39, v29
	v_fmac_f32_e32 v38, v42, v34
	v_div_scale_f32 v33, s[4:5], v5, s15, v5
	v_fmac_f32_e32 v37, v41, v37
	v_fma_f32 v44, -v30, v40, v31
	v_fmac_f32_e32 v39, v43, v35
	v_fma_f32 v26, -v26, v38, v27
	v_mul_f32_e32 v41, v33, v37
	v_fmac_f32_e32 v40, v44, v36
	v_fma_f32 v27, -v28, v39, v29
	v_div_fmas_f32 v26, v26, v34, v38
	s_mov_b64 vcc, s[0:1]
	v_fma_f32 v45, -v32, v41, v33
	v_fma_f32 v28, -v30, v40, v31
	v_div_fixup_f32 v2, v26, s15, v2
	v_div_fmas_f32 v26, v27, v35, v39
	s_mov_b64 vcc, s[2:3]
	v_fmac_f32_e32 v41, v45, v37
	v_med3_f32 v27, v2, s59, v22
	v_div_fixup_f32 v3, v26, s15, v3
	v_div_fmas_f32 v26, v28, v36, v40
	v_cmp_nlg_f32_e64 vcc, |v2|, s58
	v_fma_f32 v29, -v32, v41, v33
	v_div_fixup_f32 v4, v26, s15, v4
	v_cndmask_b32_e32 v2, v27, v2, vcc
	s_mov_b64 vcc, s[4:5]
	v_med3_f32 v27, v3, s59, v22
	v_div_fmas_f32 v26, v29, v37, v41
	v_cmp_nlg_f32_e64 vcc, |v3|, s58
	v_cvt_pk_fp8_f32 v6, v2, v2
	v_div_fixup_f32 v5, v26, s15, v5
	v_cndmask_b32_e32 v2, v27, v3, vcc
	v_med3_f32 v3, v4, s59, v22
	v_cmp_nlg_f32_e64 vcc, |v4|, s58
	v_cvt_pk_fp8_f32 v23, v2, v2
	s_nop 0
	v_cndmask_b32_e32 v2, v3, v4, vcc
	v_med3_f32 v3, v5, s59, v22
	v_cmp_nlg_f32_e64 vcc, |v5|, s58
	v_cvt_pk_fp8_f32 v24, v2, v2
	s_nop 0
	v_cndmask_b32_e32 v2, v3, v5, vcc
	v_cvt_pk_fp8_f32 v25, v2, v2
	global_store_byte v[14:15], v6, off
	global_store_byte v[16:17], v23, off
	;; [unrolled: 1-line block ×4, first 2 shown]
	s_cbranch_scc0 .LBB0_25
.LBB0_26:                               ;   in Loop: Header=BB0_7 Depth=1
	s_andn2_b64 vcc, exec, s[26:27]
	s_cbranch_vccnz .LBB0_6
; %bb.27:                               ;   in Loop: Header=BB0_7 Depth=1
	s_lshl_b64 s[0:1], s[6:7], 2
	s_add_u32 s0, s56, s0
	s_addc_u32 s1, s57, s1
	v_lshl_add_u64 v[2:3], s[0:1], 0, v[8:9]
	s_mul_i32 s0, s12, s6
	s_mov_b32 s2, s10
.LBB0_28:                               ;   Parent Loop BB0_7 Depth=1
                                        ; =>  This Inner Loop Header: Depth=2
	global_load_dword v4, v[2:3], off
	v_mov_b32_e32 v6, 0
	s_ashr_i32 s1, s0, 31
	s_add_i32 s2, s2, -1
	v_lshl_add_u64 v[2:3], v[2:3], 0, 4
	s_waitcnt vmcnt(0)
	v_div_scale_f32 v5, s[4:5], s15, s15, v4
	v_rcp_f32_e32 v8, v5
	v_div_scale_f32 v9, vcc, v4, s15, v4
	v_fma_f32 v10, -v5, v8, 1.0
	v_fmac_f32_e32 v8, v10, v8
	v_mul_f32_e32 v10, v9, v8
	v_fma_f32 v11, -v5, v10, v9
	v_fmac_f32_e32 v10, v11, v8
	v_fma_f32 v5, -v5, v10, v9
	v_div_fmas_f32 v5, v5, v8, v10
	v_div_fixup_f32 v4, v5, s15, v4
	v_med3_f32 v5, v4, s59, v22
	v_cmp_nlg_f32_e64 vcc, |v4|, s58
	s_nop 1
	v_cndmask_b32_e32 v4, v5, v4, vcc
	v_cvt_pk_fp8_f32 v6, v4, v4
	v_lshl_add_u64 v[4:5], v[12:13], 0, s[0:1]
	s_add_i32 s0, s0, s12
	s_cmp_lg_u32 s2, 0
	global_store_byte v[4:5], v6, off
	s_cbranch_scc1 .LBB0_28
	s_branch .LBB0_6
.LBB0_29:
	s_endpgm
.LBB0_30:
                                        ; implicit-def: $sgpr4_sgpr5
	s_branch .LBB0_3
	.section	.rodata,"a",@progbits
	.p2align	6, 0x0
	.amdhsa_kernel _Z24reshape_and_cache_kernelIfhL18Fp8KVCacheDataType1EEvPKT_S3_PT0_S5_PKliiiiiiff
		.amdhsa_group_segment_fixed_size 0
		.amdhsa_private_segment_fixed_size 0
		.amdhsa_kernarg_size 328
		.amdhsa_user_sgpr_count 2
		.amdhsa_user_sgpr_dispatch_ptr 0
		.amdhsa_user_sgpr_queue_ptr 0
		.amdhsa_user_sgpr_kernarg_segment_ptr 1
		.amdhsa_user_sgpr_dispatch_id 0
		.amdhsa_user_sgpr_kernarg_preload_length 0
		.amdhsa_user_sgpr_kernarg_preload_offset 0
		.amdhsa_user_sgpr_private_segment_size 0
		.amdhsa_uses_dynamic_stack 0
		.amdhsa_enable_private_segment 0
		.amdhsa_system_sgpr_workgroup_id_x 1
		.amdhsa_system_sgpr_workgroup_id_y 0
		.amdhsa_system_sgpr_workgroup_id_z 0
		.amdhsa_system_sgpr_workgroup_info 0
		.amdhsa_system_vgpr_workitem_id 0
		.amdhsa_next_free_vgpr 49
		.amdhsa_next_free_sgpr 61
		.amdhsa_accum_offset 52
		.amdhsa_reserve_vcc 1
		.amdhsa_float_round_mode_32 0
		.amdhsa_float_round_mode_16_64 0
		.amdhsa_float_denorm_mode_32 3
		.amdhsa_float_denorm_mode_16_64 3
		.amdhsa_dx10_clamp 1
		.amdhsa_ieee_mode 1
		.amdhsa_fp16_overflow 0
		.amdhsa_tg_split 0
		.amdhsa_exception_fp_ieee_invalid_op 0
		.amdhsa_exception_fp_denorm_src 0
		.amdhsa_exception_fp_ieee_div_zero 0
		.amdhsa_exception_fp_ieee_overflow 0
		.amdhsa_exception_fp_ieee_underflow 0
		.amdhsa_exception_fp_ieee_inexact 0
		.amdhsa_exception_int_div_zero 0
	.end_amdhsa_kernel
	.section	.text._Z24reshape_and_cache_kernelIfhL18Fp8KVCacheDataType1EEvPKT_S3_PT0_S5_PKliiiiiiff,"axG",@progbits,_Z24reshape_and_cache_kernelIfhL18Fp8KVCacheDataType1EEvPKT_S3_PT0_S5_PKliiiiiiff,comdat
.Lfunc_end0:
	.size	_Z24reshape_and_cache_kernelIfhL18Fp8KVCacheDataType1EEvPKT_S3_PT0_S5_PKliiiiiiff, .Lfunc_end0-_Z24reshape_and_cache_kernelIfhL18Fp8KVCacheDataType1EEvPKT_S3_PT0_S5_PKliiiiiiff
                                        ; -- End function
	.section	.AMDGPU.csdata,"",@progbits
; Kernel info:
; codeLenInByte = 4076
; NumSgprs: 67
; NumVgprs: 49
; NumAgprs: 0
; TotalNumVgprs: 49
; ScratchSize: 0
; MemoryBound: 0
; FloatMode: 240
; IeeeMode: 1
; LDSByteSize: 0 bytes/workgroup (compile time only)
; SGPRBlocks: 8
; VGPRBlocks: 6
; NumSGPRsForWavesPerEU: 67
; NumVGPRsForWavesPerEU: 49
; AccumOffset: 52
; Occupancy: 8
; WaveLimiterHint : 0
; COMPUTE_PGM_RSRC2:SCRATCH_EN: 0
; COMPUTE_PGM_RSRC2:USER_SGPR: 2
; COMPUTE_PGM_RSRC2:TRAP_HANDLER: 0
; COMPUTE_PGM_RSRC2:TGID_X_EN: 1
; COMPUTE_PGM_RSRC2:TGID_Y_EN: 0
; COMPUTE_PGM_RSRC2:TGID_Z_EN: 0
; COMPUTE_PGM_RSRC2:TIDIG_COMP_CNT: 0
; COMPUTE_PGM_RSRC3_GFX90A:ACCUM_OFFSET: 12
; COMPUTE_PGM_RSRC3_GFX90A:TG_SPLIT: 0
	.section	.text._Z24reshape_and_cache_kernelI14__hip_bfloat16hL18Fp8KVCacheDataType1EEvPKT_S4_PT0_S6_PKliiiiiiff,"axG",@progbits,_Z24reshape_and_cache_kernelI14__hip_bfloat16hL18Fp8KVCacheDataType1EEvPKT_S4_PT0_S6_PKliiiiiiff,comdat
	.protected	_Z24reshape_and_cache_kernelI14__hip_bfloat16hL18Fp8KVCacheDataType1EEvPKT_S4_PT0_S6_PKliiiiiiff ; -- Begin function _Z24reshape_and_cache_kernelI14__hip_bfloat16hL18Fp8KVCacheDataType1EEvPKT_S4_PT0_S6_PKliiiiiiff
	.globl	_Z24reshape_and_cache_kernelI14__hip_bfloat16hL18Fp8KVCacheDataType1EEvPKT_S4_PT0_S6_PKliiiiiiff
	.p2align	8
	.type	_Z24reshape_and_cache_kernelI14__hip_bfloat16hL18Fp8KVCacheDataType1EEvPKT_S4_PT0_S6_PKliiiiiiff,@function
_Z24reshape_and_cache_kernelI14__hip_bfloat16hL18Fp8KVCacheDataType1EEvPKT_S4_PT0_S6_PKliiiiiiff: ; @_Z24reshape_and_cache_kernelI14__hip_bfloat16hL18Fp8KVCacheDataType1EEvPKT_S4_PT0_S6_PKliiiiiiff
; %bb.0:
	s_load_dwordx2 s[4:5], s[0:1], 0x20
	s_mov_b32 s3, 0
	s_lshl_b64 s[6:7], s[2:3], 3
	s_waitcnt lgkmcnt(0)
	s_add_u32 s4, s4, s6
	s_addc_u32 s5, s5, s7
	s_load_dwordx2 s[34:35], s[4:5], 0x0
	s_waitcnt lgkmcnt(0)
	v_cmp_lt_i64_e64 s[4:5], s[34:35], 0
	s_and_b64 vcc, exec, s[4:5]
	s_cbranch_vccnz .LBB1_29
; %bb.1:
	s_load_dwordx8 s[8:15], s[0:1], 0x28
	s_waitcnt lgkmcnt(0)
	s_ashr_i32 s25, s12, 31
	s_mov_b32 s24, s12
	s_or_b64 s[4:5], s[34:35], s[24:25]
	s_mov_b32 s4, s3
	s_cmp_lg_u64 s[4:5], 0
	s_cbranch_scc0 .LBB1_30
; %bb.2:
	s_add_u32 s4, s24, s25
	s_mov_b32 s16, s25
	s_mov_b32 s17, s25
	s_addc_u32 s5, s25, s25
	s_xor_b64 s[18:19], s[4:5], s[16:17]
	v_cvt_f32_u32_e32 v1, s18
	v_cvt_f32_u32_e32 v2, s19
	s_sub_u32 s3, 0, s18
	s_subb_u32 s4, 0, s19
	v_fmamk_f32 v1, v2, 0x4f800000, v1
	v_rcp_f32_e32 v1, v1
	s_nop 0
	v_mul_f32_e32 v1, 0x5f7ffffc, v1
	v_mul_f32_e32 v2, 0x2f800000, v1
	v_trunc_f32_e32 v2, v2
	v_fmamk_f32 v1, v2, 0xcf800000, v1
	v_cvt_u32_f32_e32 v2, v2
	v_cvt_u32_f32_e32 v1, v1
	v_readfirstlane_b32 s5, v2
	v_readfirstlane_b32 s20, v1
	s_mul_i32 s21, s3, s5
	s_mul_hi_u32 s23, s3, s20
	s_mul_i32 s22, s4, s20
	s_add_i32 s21, s23, s21
	s_add_i32 s21, s21, s22
	s_mul_i32 s26, s3, s20
	s_mul_hi_u32 s22, s20, s21
	s_mul_i32 s23, s20, s21
	s_mul_hi_u32 s20, s20, s26
	s_add_u32 s20, s20, s23
	s_addc_u32 s22, 0, s22
	s_mul_hi_u32 s27, s5, s26
	s_mul_i32 s26, s5, s26
	s_add_u32 s20, s20, s26
	s_mul_hi_u32 s23, s5, s21
	s_addc_u32 s20, s22, s27
	s_addc_u32 s22, s23, 0
	s_mul_i32 s21, s5, s21
	s_add_u32 s20, s20, s21
	s_addc_u32 s21, 0, s22
	v_add_co_u32_e32 v1, vcc, s20, v1
	s_cmp_lg_u64 vcc, 0
	s_addc_u32 s5, s5, s21
	v_readfirstlane_b32 s21, v1
	s_mul_i32 s20, s3, s5
	s_mul_hi_u32 s22, s3, s21
	s_add_i32 s20, s22, s20
	s_mul_i32 s4, s4, s21
	s_add_i32 s20, s20, s4
	s_mul_i32 s3, s3, s21
	s_mul_hi_u32 s22, s5, s3
	s_mul_i32 s23, s5, s3
	s_mul_i32 s27, s21, s20
	s_mul_hi_u32 s3, s21, s3
	s_mul_hi_u32 s26, s21, s20
	s_add_u32 s3, s3, s27
	s_addc_u32 s21, 0, s26
	s_add_u32 s3, s3, s23
	s_mul_hi_u32 s4, s5, s20
	s_addc_u32 s3, s21, s22
	s_addc_u32 s4, s4, 0
	s_mul_i32 s20, s5, s20
	s_add_u32 s3, s3, s20
	s_addc_u32 s4, 0, s4
	v_add_co_u32_e32 v1, vcc, s3, v1
	s_cmp_lg_u64 vcc, 0
	s_addc_u32 s3, s5, s4
	s_ashr_i32 s20, s35, 31
	s_add_u32 s4, s34, s20
	s_mov_b32 s21, s20
	s_addc_u32 s5, s35, s20
	s_xor_b64 s[22:23], s[4:5], s[20:21]
	v_readfirstlane_b32 s26, v1
	s_mul_i32 s5, s22, s3
	s_mul_hi_u32 s27, s22, s26
	s_mul_hi_u32 s4, s22, s3
	s_add_u32 s5, s27, s5
	s_addc_u32 s4, 0, s4
	s_mul_hi_u32 s28, s23, s26
	s_mul_i32 s26, s23, s26
	s_add_u32 s5, s5, s26
	s_mul_hi_u32 s27, s23, s3
	s_addc_u32 s4, s4, s28
	s_addc_u32 s5, s27, 0
	s_mul_i32 s3, s23, s3
	s_add_u32 s3, s4, s3
	s_addc_u32 s26, 0, s5
	s_mul_i32 s4, s18, s26
	s_mul_hi_u32 s5, s18, s3
	s_add_i32 s4, s5, s4
	s_mul_i32 s5, s19, s3
	s_add_i32 s27, s4, s5
	s_mul_i32 s5, s18, s3
	v_mov_b32_e32 v1, s5
	s_sub_i32 s4, s23, s27
	v_sub_co_u32_e32 v1, vcc, s22, v1
	s_cmp_lg_u64 vcc, 0
	s_subb_u32 s22, s4, s19
	v_subrev_co_u32_e64 v2, s[4:5], s18, v1
	s_cmp_lg_u64 s[4:5], 0
	s_subb_u32 s4, s22, 0
	s_cmp_ge_u32 s4, s19
	v_readfirstlane_b32 s22, v2
	s_cselect_b32 s5, -1, 0
	s_cmp_ge_u32 s22, s18
	s_cselect_b32 s22, -1, 0
	s_cmp_eq_u32 s4, s19
	s_cselect_b32 s4, s22, s5
	s_add_u32 s5, s3, 1
	s_addc_u32 s22, s26, 0
	s_add_u32 s28, s3, 2
	s_addc_u32 s29, s26, 0
	s_cmp_lg_u32 s4, 0
	s_cselect_b32 s4, s28, s5
	s_cselect_b32 s5, s29, s22
	s_cmp_lg_u64 vcc, 0
	s_subb_u32 s22, s23, s27
	s_cmp_ge_u32 s22, s19
	v_readfirstlane_b32 s27, v1
	s_cselect_b32 s23, -1, 0
	s_cmp_ge_u32 s27, s18
	s_cselect_b32 s18, -1, 0
	s_cmp_eq_u32 s22, s19
	s_cselect_b32 s18, s18, s23
	s_cmp_lg_u32 s18, 0
	s_cselect_b32 s5, s5, s26
	s_cselect_b32 s4, s4, s3
	s_xor_b64 s[16:17], s[20:21], s[16:17]
	s_xor_b64 s[4:5], s[4:5], s[16:17]
	s_sub_u32 s4, s4, s16
	s_subb_u32 s5, s5, s17
	s_cbranch_execnz .LBB1_4
.LBB1_3:
	v_cvt_f32_u32_e32 v1, s24
	s_sub_i32 s3, 0, s24
	s_mov_b32 s5, 0
	v_rcp_iflag_f32_e32 v1, v1
	s_nop 0
	v_mul_f32_e32 v1, 0x4f7ffffe, v1
	v_cvt_u32_f32_e32 v1, v1
	s_nop 0
	v_readfirstlane_b32 s4, v1
	s_mul_i32 s3, s3, s4
	s_mul_hi_u32 s3, s4, s3
	s_add_i32 s4, s4, s3
	s_mul_hi_u32 s3, s34, s4
	s_mul_i32 s6, s3, s24
	s_sub_i32 s6, s34, s6
	s_add_i32 s4, s3, 1
	s_sub_i32 s7, s6, s24
	s_cmp_ge_u32 s6, s24
	s_cselect_b32 s3, s4, s3
	s_cselect_b32 s6, s7, s6
	s_add_i32 s4, s3, 1
	s_cmp_ge_u32 s6, s24
	s_cselect_b32 s4, s4, s3
.LBB1_4:
	s_abs_i32 s3, s13
	v_cvt_f32_u32_e32 v1, s3
	s_sub_i32 s16, 0, s3
	s_abs_i32 s7, s11
	s_xor_b32 s6, s11, s13
	v_rcp_iflag_f32_e32 v1, v1
	s_ashr_i32 s6, s6, 31
	v_mul_f32_e32 v1, 0x4f7ffffe, v1
	v_cvt_u32_f32_e32 v1, v1
	s_nop 0
	v_readfirstlane_b32 s17, v1
	s_mul_i32 s16, s16, s17
	s_mul_hi_u32 s16, s17, s16
	s_add_i32 s17, s17, s16
	s_mul_hi_u32 s16, s7, s17
	s_mul_i32 s17, s16, s3
	s_sub_i32 s7, s7, s17
	s_add_i32 s18, s16, 1
	s_sub_i32 s17, s7, s3
	s_cmp_ge_u32 s7, s3
	s_cselect_b32 s16, s18, s16
	s_cselect_b32 s7, s17, s7
	s_add_i32 s17, s16, 1
	s_cmp_ge_u32 s7, s3
	s_cselect_b32 s3, s17, s16
	s_xor_b32 s3, s3, s6
	s_sub_i32 s33, s3, s6
	s_mul_i32 s38, s33, s10
	v_cmp_gt_i32_e32 vcc, s38, v0
	s_and_saveexec_b64 s[6:7], vcc
	s_cbranch_execz .LBB1_29
; %bb.5:
	s_mul_i32 s3, s4, s25
	s_mul_hi_u32 s6, s4, s24
	s_add_i32 s3, s6, s3
	s_mul_i32 s6, s5, s24
	s_add_i32 s3, s3, s6
	s_mul_i32 s36, s4, s24
	s_load_dwordx8 s[16:23], s[0:1], 0x0
	s_sub_u32 s6, s34, s36
	s_subb_u32 s7, s35, s3
	s_ashr_i32 s25, s8, 31
	s_mul_hi_u32 s26, s8, s2
	s_mul_i32 s25, s25, s2
	s_add_i32 s27, s26, s25
	s_mul_i32 s26, s8, s2
	s_lshl_b64 s[26:27], s[26:27], 1
	s_waitcnt lgkmcnt(0)
	s_add_u32 s16, s16, s26
	s_mul_i32 s5, s38, s5
	s_mul_hi_u32 s25, s38, s4
	s_mul_hi_i32 s37, s10, s33
	s_addc_u32 s17, s17, s27
	s_add_i32 s5, s25, s5
	s_mul_i32 s10, s37, s4
	s_add_i32 s5, s5, s10
	s_mul_i32 s4, s38, s4
	s_mul_hi_i32 s10, s13, s24
	s_mul_i32 s24, s13, s24
	s_mul_hi_u32 s25, s24, s4
	s_mul_i32 s5, s24, s5
	s_add_i32 s5, s25, s5
	s_mul_i32 s10, s10, s4
	s_ashr_i32 s8, s9, 31
	s_ashr_i32 s45, s13, 31
	s_add_i32 s26, s5, s10
	s_mul_i32 s27, s24, s4
	s_and_b32 s4, s13, 7
	s_cmp_eq_u32 s4, 0
	s_cselect_b64 s[4:5], -1, 0
	s_ashr_i32 s10, s13, 3
	s_load_dword s0, s[0:1], 0x54
	s_cmp_gt_i32 s10, 0
	s_cselect_b64 s[24:25], -1, 0
	s_add_u32 s22, s22, s27
	s_addc_u32 s23, s23, s26
	s_cmp_gt_i32 s13, 0
	s_cselect_b64 s[26:27], -1, 0
	s_waitcnt lgkmcnt(0)
	s_and_b32 s39, s0, 0xffff
	s_and_b32 s40, s13, 3
	s_cmp_gt_u32 s13, 3
	s_cselect_b64 s[28:29], -1, 0
	s_and_b32 s41, s13, 0x7ffffffc
	s_cmp_lg_u32 s40, 0
	s_cselect_b64 s[30:31], -1, 0
	s_abs_i32 s42, s33
	v_cvt_f32_u32_e32 v1, s42
	s_ashr_i32 s44, s33, 31
	s_sub_i32 s0, 0, s42
	s_mul_i32 s8, s8, s2
	v_rcp_iflag_f32_e32 v1, v1
	s_mul_i32 s43, s13, s12
	v_mov_b32_e32 v7, 0
	s_mul_i32 s47, s12, 3
	v_mul_f32_e32 v1, 0x4f7ffffe, v1
	v_cvt_u32_f32_e32 v1, v1
	s_mov_b32 s50, 0x7f800000
	s_mov_b32 s51, 0x43700000
	;; [unrolled: 1-line block ×3, first 2 shown]
	v_mul_lo_u32 v2, s0, v1
	s_add_u32 s0, s38, -1
	s_addc_u32 s1, s37, -1
	s_mul_i32 s1, s36, s1
	s_mul_hi_u32 s37, s36, s0
	s_mul_i32 s3, s3, s0
	s_add_i32 s1, s37, s1
	s_add_i32 s1, s1, s3
	s_mul_i32 s36, s36, s0
	s_add_u32 s0, s34, s36
	s_addc_u32 s1, s35, s1
	s_mul_i32 s3, s0, s45
	s_mul_hi_u32 s34, s0, s13
	s_add_i32 s3, s34, s3
	s_mul_i32 s1, s1, s13
	s_add_i32 s3, s3, s1
	s_mul_i32 s0, s0, s13
	s_add_u32 s20, s20, s0
	s_mul_hi_u32 s0, s9, s2
	s_addc_u32 s21, s21, s3
	s_add_i32 s1, s0, s8
	s_mul_i32 s0, s9, s2
	s_lshl_b32 s45, s12, 2
	s_lshl_b32 s46, s12, 1
	s_lshl_b64 s[0:1], s[0:1], 1
	s_add_u32 s48, s18, s0
	s_addc_u32 s49, s19, s1
	v_mul_hi_u32 v2, v1, v2
	s_add_u32 s8, s48, 4
	v_add_u32_e32 v1, v1, v2
	s_addc_u32 s9, s49, 0
	s_mov_b64 s[18:19], 0
	s_xor_b64 s[34:35], s[4:5], -1
	v_mov_b32_e32 v22, 0xc3700000
	v_mov_b32_e32 v23, 8
	s_branch .LBB1_7
.LBB1_6:                                ;   in Loop: Header=BB1_7 Depth=1
	v_add_u32_e32 v0, s39, v0
	v_cmp_le_i32_e32 vcc, s38, v0
	s_or_b64 s[18:19], vcc, s[18:19]
	s_andn2_b64 exec, exec, s[18:19]
	s_cbranch_execz .LBB1_29
.LBB1_7:                                ; =>This Loop Header: Depth=1
                                        ;     Child Loop BB1_10 Depth 2
                                        ;     Child Loop BB1_13 Depth 2
	;; [unrolled: 1-line block ×6, first 2 shown]
	v_sub_u32_e32 v3, 0, v0
	v_max_i32_e32 v3, v0, v3
	v_mul_hi_u32 v4, v3, v1
	v_mul_lo_u32 v5, v4, s42
	v_sub_u32_e32 v3, v3, v5
	v_add_u32_e32 v5, 1, v4
	v_cmp_le_u32_e32 vcc, s42, v3
	v_ashrrev_i32_e32 v2, 31, v0
	v_xor_b32_e32 v2, s44, v2
	v_cndmask_b32_e32 v4, v4, v5, vcc
	v_subrev_u32_e32 v5, s42, v3
	v_cndmask_b32_e32 v3, v3, v5, vcc
	v_add_u32_e32 v5, 1, v4
	v_cmp_le_u32_e32 vcc, s42, v3
	s_nop 1
	v_cndmask_b32_e32 v3, v4, v5, vcc
	v_xor_b32_e32 v3, v3, v2
	v_sub_u32_e32 v2, v3, v2
	v_mul_lo_u32 v4, v2, s33
	v_sub_u32_e32 v5, v0, v4
	v_mul_lo_u32 v8, v2, s11
	v_ashrrev_i32_e32 v9, 31, v8
	v_mul_lo_u32 v10, v5, s13
	v_lshl_add_u64 v[2:3], v[8:9], 1, s[16:17]
	v_ashrrev_i32_e32 v11, 31, v10
	v_lshl_add_u64 v[16:17], v[10:11], 1, v[2:3]
	v_and_b32_e32 v6, 15, v16
	v_mul_lo_u32 v12, v4, s43
	v_mul_lo_u32 v14, s43, v5
	v_cmp_ne_u64_e32 vcc, 0, v[6:7]
	v_ashrrev_i32_e32 v13, 31, v12
	v_ashrrev_i32_e32 v15, 31, v14
	s_or_b64 s[0:1], s[34:35], vcc
	s_and_saveexec_b64 s[2:3], s[0:1]
	s_xor_b64 s[0:1], exec, s[2:3]
	s_cbranch_execz .LBB1_18
; %bb.8:                                ;   in Loop: Header=BB1_7 Depth=1
	v_sub_u32_e32 v2, 0, v16
	v_bfe_u32 v2, v2, 1, 3
	v_min_i32_e32 v18, s13, v2
	v_cmp_lt_i32_e32 vcc, 0, v18
	s_and_saveexec_b64 s[2:3], vcc
	s_cbranch_execz .LBB1_11
; %bb.9:                                ;   in Loop: Header=BB1_7 Depth=1
	v_lshl_add_u64 v[2:3], v[12:13], 0, v[14:15]
	v_lshl_add_u64 v[2:3], s[20:21], 0, v[2:3]
	s_mov_b64 s[4:5], 0
	v_mov_b64_e32 v[4:5], v[16:17]
	v_mov_b32_e32 v6, v18
.LBB1_10:                               ;   Parent Loop BB1_7 Depth=1
                                        ; =>  This Inner Loop Header: Depth=2
	global_load_ushort v19, v[4:5], off
	v_mov_b32_e32 v20, 0
	v_add_u32_e32 v6, -1, v6
	v_lshl_add_u64 v[4:5], v[4:5], 0, 2
	s_waitcnt vmcnt(0)
	v_lshlrev_b32_e32 v19, 16, v19
	v_div_scale_f32 v21, s[36:37], s14, s14, v19
	v_rcp_f32_e32 v25, v21
	v_div_scale_f32 v24, vcc, v19, s14, v19
	v_fma_f32 v26, -v21, v25, 1.0
	v_fmac_f32_e32 v25, v26, v25
	v_mul_f32_e32 v26, v24, v25
	v_fma_f32 v27, -v21, v26, v24
	v_fmac_f32_e32 v26, v27, v25
	v_fma_f32 v21, -v21, v26, v24
	v_div_fmas_f32 v21, v21, v25, v26
	v_div_fixup_f32 v19, v21, s14, v19
	v_med3_f32 v21, v19, s51, v22
	v_cmp_nlg_f32_e64 vcc, |v19|, s50
	s_nop 1
	v_cndmask_b32_e32 v19, v21, v19, vcc
	v_cvt_pk_fp8_f32 v20, v19, v19
	v_cmp_eq_u32_e32 vcc, 0, v6
	s_or_b64 s[4:5], vcc, s[4:5]
	global_store_byte v[2:3], v20, off
	v_lshl_add_u64 v[2:3], v[2:3], 0, 1
	s_andn2_b64 exec, exec, s[4:5]
	s_cbranch_execnz .LBB1_10
.LBB1_11:                               ;   in Loop: Header=BB1_7 Depth=1
	s_or_b64 exec, exec, s[2:3]
	v_sub_u32_e32 v6, s13, v18
	v_ashrrev_i32_e32 v2, 31, v6
	v_lshrrev_b32_e32 v2, 29, v2
	v_add_u32_e32 v2, v6, v2
	v_ashrrev_i32_e32 v19, 31, v18
	v_ashrrev_i32_e32 v24, 3, v2
	v_cmp_lt_i32_e32 vcc, 7, v6
	s_and_saveexec_b64 s[2:3], vcc
	s_cbranch_execz .LBB1_14
; %bb.12:                               ;   in Loop: Header=BB1_7 Depth=1
	v_lshl_add_u64 v[2:3], v[18:19], 0, v[12:13]
	v_lshl_add_u64 v[2:3], v[2:3], 0, v[14:15]
	;; [unrolled: 1-line block ×4, first 2 shown]
	s_mov_b64 s[4:5], 0
	v_mov_b32_e32 v25, v24
.LBB1_13:                               ;   Parent Loop BB1_7 Depth=1
                                        ; =>  This Inner Loop Header: Depth=2
	global_load_dwordx4 v[2:5], v[16:17], off
	v_add_u32_e32 v25, -1, v25
	v_lshl_add_u64 v[16:17], v[16:17], 0, 16
	s_waitcnt vmcnt(0)
	v_lshlrev_b32_e32 v26, 16, v2
	v_div_scale_f32 v27, s[36:37], s14, s14, v26
	v_rcp_f32_e32 v28, v27
	v_and_b32_e32 v2, 0xffff0000, v2
	v_fma_f32 v29, -v27, v28, 1.0
	v_fmac_f32_e32 v28, v29, v28
	v_div_scale_f32 v29, vcc, v26, s14, v26
	v_mul_f32_e32 v30, v29, v28
	v_fma_f32 v31, -v27, v30, v29
	v_fmac_f32_e32 v30, v31, v28
	v_fma_f32 v27, -v27, v30, v29
	v_div_fmas_f32 v27, v27, v28, v30
	v_div_fixup_f32 v26, v27, s14, v26
	v_cmp_nlg_f32_e64 vcc, |v26|, s50
	v_med3_f32 v27, v26, s51, v22
	s_nop 0
	v_cndmask_b32_e32 v27, v27, v26, vcc
	v_mov_b32_e32 v26, 0
	v_cvt_pk_fp8_f32 v26, v27, v27
	v_div_scale_f32 v27, s[36:37], s14, s14, v2
	v_rcp_f32_e32 v28, v27
	s_nop 0
	v_fma_f32 v29, -v27, v28, 1.0
	v_fmac_f32_e32 v28, v29, v28
	v_div_scale_f32 v29, vcc, v2, s14, v2
	v_mul_f32_e32 v30, v29, v28
	v_fma_f32 v31, -v27, v30, v29
	v_fmac_f32_e32 v30, v31, v28
	v_fma_f32 v27, -v27, v30, v29
	v_div_fmas_f32 v27, v27, v28, v30
	v_div_fixup_f32 v2, v27, s14, v2
	v_cmp_nlg_f32_e64 vcc, |v2|, s50
	v_med3_f32 v27, v2, s51, v22
	s_nop 0
	v_cndmask_b32_e32 v2, v27, v2, vcc
	v_mov_b32_e32 v27, 0
	v_cvt_pk_fp8_f32 v27, v2, v2
	v_lshlrev_b32_e32 v2, 16, v3
	v_div_scale_f32 v28, s[36:37], s14, s14, v2
	v_rcp_f32_e32 v29, v28
	s_nop 0
	v_fma_f32 v30, -v28, v29, 1.0
	v_fmac_f32_e32 v29, v30, v29
	v_div_scale_f32 v30, vcc, v2, s14, v2
	v_mul_f32_e32 v31, v30, v29
	v_fma_f32 v32, -v28, v31, v30
	v_fmac_f32_e32 v31, v32, v29
	v_fma_f32 v28, -v28, v31, v30
	v_div_fmas_f32 v28, v28, v29, v31
	v_div_fixup_f32 v2, v28, s14, v2
	v_cmp_nlg_f32_e64 vcc, |v2|, s50
	v_med3_f32 v28, v2, s51, v22
	s_nop 0
	v_cndmask_b32_e32 v2, v28, v2, vcc
	v_mov_b32_e32 v28, 0
	v_cvt_pk_fp8_f32 v28, v2, v2
	v_and_b32_e32 v2, 0xffff0000, v3
	v_div_scale_f32 v3, s[36:37], s14, s14, v2
	v_rcp_f32_e32 v29, v3
	s_nop 0
	v_fma_f32 v30, -v3, v29, 1.0
	v_fmac_f32_e32 v29, v30, v29
	v_div_scale_f32 v30, vcc, v2, s14, v2
	v_mul_f32_e32 v31, v30, v29
	v_fma_f32 v32, -v3, v31, v30
	v_fmac_f32_e32 v31, v32, v29
	v_fma_f32 v3, -v3, v31, v30
	v_div_fmas_f32 v3, v3, v29, v31
	v_div_fixup_f32 v2, v3, s14, v2
	v_cmp_nlg_f32_e64 vcc, |v2|, s50
	v_med3_f32 v3, v2, s51, v22
	v_mov_b32_e32 v29, 0
	v_cndmask_b32_e32 v2, v3, v2, vcc
	v_cvt_pk_fp8_f32 v29, v2, v2
	v_lshlrev_b32_e32 v2, 16, v4
	v_div_scale_f32 v3, s[36:37], s14, s14, v2
	v_rcp_f32_e32 v30, v3
	s_nop 0
	v_fma_f32 v31, -v3, v30, 1.0
	v_fmac_f32_e32 v30, v31, v30
	v_div_scale_f32 v31, vcc, v2, s14, v2
	v_mul_f32_e32 v32, v31, v30
	v_fma_f32 v33, -v3, v32, v31
	v_fmac_f32_e32 v32, v33, v30
	v_fma_f32 v3, -v3, v32, v31
	v_div_fmas_f32 v3, v3, v30, v32
	v_div_fixup_f32 v2, v3, s14, v2
	v_cmp_nlg_f32_e64 vcc, |v2|, s50
	v_med3_f32 v3, v2, s51, v22
	s_nop 0
	v_cndmask_b32_e32 v2, v3, v2, vcc
	v_mov_b32_e32 v3, 0
	v_cvt_pk_fp8_f32 v3, v2, v2
	v_and_b32_e32 v2, 0xffff0000, v4
	v_div_scale_f32 v4, s[36:37], s14, s14, v2
	v_rcp_f32_e32 v30, v4
	v_and_b32_e32 v3, 0xff, v3
	v_fma_f32 v31, -v4, v30, 1.0
	v_fmac_f32_e32 v30, v31, v30
	v_div_scale_f32 v31, vcc, v2, s14, v2
	v_mul_f32_e32 v32, v31, v30
	v_fma_f32 v33, -v4, v32, v31
	v_fmac_f32_e32 v32, v33, v30
	v_fma_f32 v4, -v4, v32, v31
	v_div_fmas_f32 v4, v4, v30, v32
	v_div_fixup_f32 v2, v4, s14, v2
	v_cmp_nlg_f32_e64 vcc, |v2|, s50
	v_med3_f32 v4, v2, s51, v22
	s_nop 0
	v_cndmask_b32_e32 v2, v4, v2, vcc
	v_mov_b32_e32 v4, 0
	v_cvt_pk_fp8_f32 v4, v2, v2
	v_lshlrev_b32_e32 v2, 16, v5
	v_div_scale_f32 v30, s[36:37], s14, s14, v2
	v_rcp_f32_e32 v31, v30
	v_lshlrev_b32_sdwa v4, v23, v4 dst_sel:DWORD dst_unused:UNUSED_PAD src0_sel:DWORD src1_sel:BYTE_0
	v_fma_f32 v32, -v30, v31, 1.0
	v_fmac_f32_e32 v31, v32, v31
	v_div_scale_f32 v32, vcc, v2, s14, v2
	v_mul_f32_e32 v33, v32, v31
	v_fma_f32 v34, -v30, v33, v32
	v_fmac_f32_e32 v33, v34, v31
	v_fma_f32 v30, -v30, v33, v32
	v_div_fmas_f32 v30, v30, v31, v33
	v_div_fixup_f32 v2, v30, s14, v2
	v_cmp_nlg_f32_e64 vcc, |v2|, s50
	v_med3_f32 v30, v2, s51, v22
	s_nop 0
	v_cndmask_b32_e32 v2, v30, v2, vcc
	v_mov_b32_e32 v30, 0
	v_cvt_pk_fp8_f32 v30, v2, v2
	v_and_b32_e32 v2, 0xffff0000, v5
	v_div_scale_f32 v5, s[36:37], s14, s14, v2
	v_rcp_f32_e32 v31, v5
	s_nop 0
	v_fma_f32 v32, -v5, v31, 1.0
	v_fmac_f32_e32 v31, v32, v31
	v_div_scale_f32 v32, vcc, v2, s14, v2
	v_mul_f32_e32 v33, v32, v31
	v_fma_f32 v34, -v5, v33, v32
	v_fmac_f32_e32 v33, v34, v31
	v_fma_f32 v5, -v5, v33, v32
	v_div_fmas_f32 v5, v5, v31, v33
	v_div_fixup_f32 v2, v5, s14, v2
	v_cmp_nlg_f32_e64 vcc, |v2|, s50
	v_med3_f32 v5, v2, s51, v22
	s_nop 0
	v_cndmask_b32_e32 v2, v5, v2, vcc
	v_mov_b32_e32 v5, 0
	v_cvt_pk_fp8_f32 v5, v2, v2
	v_cmp_eq_u32_e32 vcc, 0, v25
	s_or_b64 s[4:5], vcc, s[4:5]
	v_lshlrev_b32_e32 v2, 24, v5
	v_and_b32_e32 v5, 0xff, v30
	v_lshlrev_b32_e32 v5, 16, v5
	v_or_b32_e32 v2, v2, v5
	v_or3_b32 v3, v2, v4, v3
	v_lshlrev_b32_e32 v2, 16, v28
	v_lshlrev_b32_e32 v4, 8, v27
	v_perm_b32 v2, v29, v2, s52
	v_and_b32_e32 v5, 0xff, v26
	v_and_b32_e32 v4, 0xff00, v4
	v_or3_b32 v2, v2, v4, v5
	global_store_dwordx2 v[20:21], v[2:3], off
	v_lshl_add_u64 v[20:21], v[20:21], 0, 8
	s_andn2_b64 exec, exec, s[4:5]
	s_cbranch_execnz .LBB1_13
.LBB1_14:                               ;   in Loop: Header=BB1_7 Depth=1
	s_or_b64 exec, exec, s[2:3]
	v_lshlrev_b32_e32 v2, 3, v24
	v_cmp_lt_i32_e32 vcc, v2, v6
	s_and_saveexec_b64 s[2:3], vcc
	s_cbranch_execz .LBB1_17
; %bb.15:                               ;   in Loop: Header=BB1_7 Depth=1
	v_lshlrev_b64 v[4:5], 1, v[10:11]
	v_lshl_add_u64 v[4:5], v[18:19], 1, v[4:5]
	v_lshl_add_u64 v[16:17], v[18:19], 0, v[12:13]
	;; [unrolled: 1-line block ×3, first 2 shown]
	v_ashrrev_i32_e32 v3, 31, v2
	v_lshl_add_u64 v[14:15], v[16:17], 0, v[14:15]
	v_lshl_add_u64 v[4:5], v[2:3], 1, v[4:5]
	;; [unrolled: 1-line block ×5, first 2 shown]
	s_mov_b64 s[4:5], 0
.LBB1_16:                               ;   Parent Loop BB1_7 Depth=1
                                        ; =>  This Inner Loop Header: Depth=2
	global_load_ushort v3, v[4:5], off
	v_mov_b32_e32 v16, 0
	v_add_u32_e32 v2, 1, v2
	v_lshl_add_u64 v[4:5], v[4:5], 0, 2
	s_waitcnt vmcnt(0)
	v_lshlrev_b32_e32 v3, 16, v3
	v_div_scale_f32 v17, s[36:37], s14, s14, v3
	v_rcp_f32_e32 v19, v17
	v_div_scale_f32 v18, vcc, v3, s14, v3
	v_fma_f32 v20, -v17, v19, 1.0
	v_fmac_f32_e32 v19, v20, v19
	v_mul_f32_e32 v20, v18, v19
	v_fma_f32 v21, -v17, v20, v18
	v_fmac_f32_e32 v20, v21, v19
	v_fma_f32 v17, -v17, v20, v18
	v_div_fmas_f32 v17, v17, v19, v20
	v_div_fixup_f32 v3, v17, s14, v3
	v_med3_f32 v17, v3, s51, v22
	v_cmp_nlg_f32_e64 vcc, |v3|, s50
	s_nop 1
	v_cndmask_b32_e32 v3, v17, v3, vcc
	v_cvt_pk_fp8_f32 v16, v3, v3
	v_cmp_ge_i32_e32 vcc, v2, v6
	s_or_b64 s[4:5], vcc, s[4:5]
	global_store_byte v[14:15], v16, off
	v_lshl_add_u64 v[14:15], v[14:15], 0, 1
	s_andn2_b64 exec, exec, s[4:5]
	s_cbranch_execnz .LBB1_16
.LBB1_17:                               ;   in Loop: Header=BB1_7 Depth=1
	s_or_b64 exec, exec, s[2:3]
                                        ; implicit-def: $vgpr16_vgpr17
                                        ; implicit-def: $vgpr14_vgpr15
.LBB1_18:                               ;   in Loop: Header=BB1_7 Depth=1
	s_andn2_saveexec_b64 s[0:1], s[0:1]
	s_cbranch_execz .LBB1_22
; %bb.19:                               ;   in Loop: Header=BB1_7 Depth=1
	s_andn2_b64 vcc, exec, s[24:25]
	s_cbranch_vccnz .LBB1_22
; %bb.20:                               ;   in Loop: Header=BB1_7 Depth=1
	v_lshl_add_u64 v[2:3], v[12:13], 0, v[14:15]
	v_lshl_add_u64 v[14:15], s[20:21], 0, v[2:3]
	s_mov_b32 s2, s10
.LBB1_21:                               ;   Parent Loop BB1_7 Depth=1
                                        ; =>  This Inner Loop Header: Depth=2
	global_load_dwordx4 v[2:5], v[16:17], off
	s_add_i32 s2, s2, -1
	v_lshl_add_u64 v[16:17], v[16:17], 0, 16
	s_cmp_eq_u32 s2, 0
	s_waitcnt vmcnt(0)
	v_lshlrev_b32_e32 v6, 16, v2
	v_div_scale_f32 v18, s[4:5], s14, s14, v6
	v_rcp_f32_e32 v19, v18
	v_and_b32_e32 v2, 0xffff0000, v2
	v_fma_f32 v20, -v18, v19, 1.0
	v_fmac_f32_e32 v19, v20, v19
	v_div_scale_f32 v20, vcc, v6, s14, v6
	v_mul_f32_e32 v21, v20, v19
	v_fma_f32 v24, -v18, v21, v20
	v_fmac_f32_e32 v21, v24, v19
	v_fma_f32 v18, -v18, v21, v20
	v_div_fmas_f32 v18, v18, v19, v21
	v_div_fixup_f32 v6, v18, s14, v6
	v_cmp_nlg_f32_e64 vcc, |v6|, s50
	v_med3_f32 v18, v6, s51, v22
	s_nop 0
	v_cndmask_b32_e32 v18, v18, v6, vcc
	v_mov_b32_e32 v6, 0
	v_cvt_pk_fp8_f32 v6, v18, v18
	v_div_scale_f32 v18, s[4:5], s14, s14, v2
	v_rcp_f32_e32 v19, v18
	s_nop 0
	v_fma_f32 v20, -v18, v19, 1.0
	v_fmac_f32_e32 v19, v20, v19
	v_div_scale_f32 v20, vcc, v2, s14, v2
	v_mul_f32_e32 v21, v20, v19
	v_fma_f32 v24, -v18, v21, v20
	v_fmac_f32_e32 v21, v24, v19
	v_fma_f32 v18, -v18, v21, v20
	v_div_fmas_f32 v18, v18, v19, v21
	v_div_fixup_f32 v2, v18, s14, v2
	v_cmp_nlg_f32_e64 vcc, |v2|, s50
	v_med3_f32 v18, v2, s51, v22
	s_nop 0
	v_cndmask_b32_e32 v2, v18, v2, vcc
	v_mov_b32_e32 v18, 0
	v_cvt_pk_fp8_f32 v18, v2, v2
	v_lshlrev_b32_e32 v2, 16, v3
	v_div_scale_f32 v19, s[4:5], s14, s14, v2
	v_rcp_f32_e32 v20, v19
	s_nop 0
	v_fma_f32 v21, -v19, v20, 1.0
	v_fmac_f32_e32 v20, v21, v20
	v_div_scale_f32 v21, vcc, v2, s14, v2
	v_mul_f32_e32 v24, v21, v20
	v_fma_f32 v25, -v19, v24, v21
	v_fmac_f32_e32 v24, v25, v20
	v_fma_f32 v19, -v19, v24, v21
	v_div_fmas_f32 v19, v19, v20, v24
	v_div_fixup_f32 v2, v19, s14, v2
	v_cmp_nlg_f32_e64 vcc, |v2|, s50
	v_med3_f32 v19, v2, s51, v22
	s_nop 0
	v_cndmask_b32_e32 v2, v19, v2, vcc
	v_mov_b32_e32 v19, 0
	v_cvt_pk_fp8_f32 v19, v2, v2
	v_and_b32_e32 v2, 0xffff0000, v3
	v_div_scale_f32 v3, s[4:5], s14, s14, v2
	v_rcp_f32_e32 v20, v3
	s_nop 0
	v_fma_f32 v21, -v3, v20, 1.0
	v_fmac_f32_e32 v20, v21, v20
	v_div_scale_f32 v21, vcc, v2, s14, v2
	v_mul_f32_e32 v24, v21, v20
	v_fma_f32 v25, -v3, v24, v21
	v_fmac_f32_e32 v24, v25, v20
	v_fma_f32 v3, -v3, v24, v21
	v_div_fmas_f32 v3, v3, v20, v24
	v_div_fixup_f32 v2, v3, s14, v2
	v_cmp_nlg_f32_e64 vcc, |v2|, s50
	v_med3_f32 v3, v2, s51, v22
	v_mov_b32_e32 v20, 0
	v_cndmask_b32_e32 v2, v3, v2, vcc
	v_cvt_pk_fp8_f32 v20, v2, v2
	v_lshlrev_b32_e32 v2, 16, v4
	v_div_scale_f32 v3, s[4:5], s14, s14, v2
	v_rcp_f32_e32 v21, v3
	s_nop 0
	v_fma_f32 v24, -v3, v21, 1.0
	v_fmac_f32_e32 v21, v24, v21
	v_div_scale_f32 v24, vcc, v2, s14, v2
	v_mul_f32_e32 v25, v24, v21
	v_fma_f32 v26, -v3, v25, v24
	v_fmac_f32_e32 v25, v26, v21
	v_fma_f32 v3, -v3, v25, v24
	v_div_fmas_f32 v3, v3, v21, v25
	v_div_fixup_f32 v2, v3, s14, v2
	v_cmp_nlg_f32_e64 vcc, |v2|, s50
	v_med3_f32 v3, v2, s51, v22
	s_nop 0
	v_cndmask_b32_e32 v2, v3, v2, vcc
	v_mov_b32_e32 v3, 0
	v_cvt_pk_fp8_f32 v3, v2, v2
	v_and_b32_e32 v2, 0xffff0000, v4
	v_div_scale_f32 v4, s[4:5], s14, s14, v2
	v_rcp_f32_e32 v21, v4
	v_and_b32_e32 v3, 0xff, v3
	v_fma_f32 v24, -v4, v21, 1.0
	v_fmac_f32_e32 v21, v24, v21
	v_div_scale_f32 v24, vcc, v2, s14, v2
	v_mul_f32_e32 v25, v24, v21
	v_fma_f32 v26, -v4, v25, v24
	v_fmac_f32_e32 v25, v26, v21
	v_fma_f32 v4, -v4, v25, v24
	v_div_fmas_f32 v4, v4, v21, v25
	v_div_fixup_f32 v2, v4, s14, v2
	v_cmp_nlg_f32_e64 vcc, |v2|, s50
	v_med3_f32 v4, v2, s51, v22
	s_nop 0
	v_cndmask_b32_e32 v2, v4, v2, vcc
	v_mov_b32_e32 v4, 0
	v_cvt_pk_fp8_f32 v4, v2, v2
	v_lshlrev_b32_e32 v2, 16, v5
	v_div_scale_f32 v21, s[4:5], s14, s14, v2
	v_rcp_f32_e32 v24, v21
	v_lshlrev_b32_sdwa v4, v23, v4 dst_sel:DWORD dst_unused:UNUSED_PAD src0_sel:DWORD src1_sel:BYTE_0
	v_fma_f32 v25, -v21, v24, 1.0
	v_fmac_f32_e32 v24, v25, v24
	v_div_scale_f32 v25, vcc, v2, s14, v2
	v_mul_f32_e32 v26, v25, v24
	v_fma_f32 v27, -v21, v26, v25
	v_fmac_f32_e32 v26, v27, v24
	v_fma_f32 v21, -v21, v26, v25
	v_div_fmas_f32 v21, v21, v24, v26
	v_div_fixup_f32 v2, v21, s14, v2
	v_cmp_nlg_f32_e64 vcc, |v2|, s50
	v_med3_f32 v21, v2, s51, v22
	s_nop 0
	v_cndmask_b32_e32 v2, v21, v2, vcc
	v_mov_b32_e32 v21, 0
	v_cvt_pk_fp8_f32 v21, v2, v2
	v_and_b32_e32 v2, 0xffff0000, v5
	v_div_scale_f32 v5, s[4:5], s14, s14, v2
	v_rcp_f32_e32 v24, v5
	s_nop 0
	v_fma_f32 v25, -v5, v24, 1.0
	v_fmac_f32_e32 v24, v25, v24
	v_div_scale_f32 v25, vcc, v2, s14, v2
	v_mul_f32_e32 v26, v25, v24
	v_fma_f32 v27, -v5, v26, v25
	v_fmac_f32_e32 v26, v27, v24
	v_fma_f32 v5, -v5, v26, v25
	v_div_fmas_f32 v5, v5, v24, v26
	v_div_fixup_f32 v2, v5, s14, v2
	v_cmp_nlg_f32_e64 vcc, |v2|, s50
	v_med3_f32 v5, v2, s51, v22
	s_nop 0
	v_cndmask_b32_e32 v2, v5, v2, vcc
	v_mov_b32_e32 v5, 0
	v_cvt_pk_fp8_f32 v5, v2, v2
	v_lshlrev_b32_e32 v2, 24, v5
	v_and_b32_e32 v5, 0xff, v21
	v_lshlrev_b32_e32 v5, 16, v5
	v_or_b32_e32 v2, v2, v5
	v_or3_b32 v3, v2, v4, v3
	v_lshlrev_b32_e32 v2, 16, v19
	v_lshlrev_b32_e32 v4, 8, v18
	v_perm_b32 v2, v20, v2, s52
	v_and_b32_e32 v5, 0xff, v6
	v_and_b32_e32 v4, 0xff00, v4
	v_or3_b32 v2, v2, v4, v5
	global_store_dwordx2 v[14:15], v[2:3], off
	v_lshl_add_u64 v[14:15], v[14:15], 0, 8
	s_cbranch_scc0 .LBB1_21
.LBB1_22:                               ;   in Loop: Header=BB1_7 Depth=1
	s_or_b64 exec, exec, s[0:1]
	s_andn2_b64 vcc, exec, s[26:27]
	s_cbranch_vccnz .LBB1_6
; %bb.23:                               ;   in Loop: Header=BB1_7 Depth=1
	v_mul_lo_u32 v2, v10, s12
	v_ashrrev_i32_e32 v3, 31, v2
	v_lshl_add_u64 v[4:5], s[22:23], 0, v[12:13]
	v_lshl_add_u64 v[2:3], v[4:5], 0, v[2:3]
	v_lshlrev_b64 v[4:5], 1, v[8:9]
	v_lshl_add_u64 v[2:3], v[2:3], 0, s[6:7]
	s_mov_b32 s54, 0
	s_andn2_b64 vcc, exec, s[28:29]
	v_lshl_add_u64 v[4:5], v[10:11], 1, v[4:5]
	s_cbranch_vccnz .LBB1_26
; %bb.24:                               ;   in Loop: Header=BB1_7 Depth=1
	v_lshl_add_u64 v[8:9], s[8:9], 0, v[4:5]
	s_mov_b32 s36, 0
	s_mov_b32 s53, 0
.LBB1_25:                               ;   Parent Loop BB1_7 Depth=1
                                        ; =>  This Inner Loop Header: Depth=2
	global_load_dwordx2 v[10:11], v[8:9], off offset:-4
	s_add_i32 s0, s12, s36
	s_ashr_i32 s1, s0, 31
	s_add_i32 s2, s46, s36
	v_lshl_add_u64 v[14:15], v[2:3], 0, s[0:1]
	s_ashr_i32 s3, s2, 31
	s_add_i32 s4, s47, s36
	v_lshl_add_u64 v[16:17], v[2:3], 0, s[2:3]
	s_ashr_i32 s5, s4, 31
	v_lshl_add_u64 v[18:19], v[2:3], 0, s[4:5]
	v_mov_b32_e32 v6, 0
	v_mov_b32_e32 v20, 0
	s_ashr_i32 s37, s36, 31
	v_mov_b32_e32 v21, 0
	v_mov_b32_e32 v24, 0
	s_add_i32 s53, s53, 4
	v_lshl_add_u64 v[12:13], v[2:3], 0, s[36:37]
	s_add_i32 s36, s36, s45
	v_lshl_add_u64 v[8:9], v[8:9], 0, 8
	s_mov_b32 s54, s41
	s_cmp_eq_u32 s41, s53
	s_waitcnt vmcnt(0)
	v_lshlrev_b32_e32 v25, 16, v10
	v_and_b32_e32 v10, 0xffff0000, v10
	v_div_scale_f32 v27, s[0:1], s15, s15, v25
	v_lshlrev_b32_e32 v26, 16, v11
	v_div_scale_f32 v29, s[0:1], s15, s15, v10
	v_rcp_f32_e32 v35, v27
	v_div_scale_f32 v31, s[2:3], s15, s15, v26
	v_rcp_f32_e32 v36, v29
	v_and_b32_e32 v11, 0xffff0000, v11
	v_rcp_f32_e32 v37, v31
	v_div_scale_f32 v33, s[4:5], s15, s15, v11
	v_rcp_f32_e32 v38, v33
	v_fma_f32 v39, -v27, v35, 1.0
	v_div_scale_f32 v28, vcc, v25, s15, v25
	v_fma_f32 v40, -v29, v36, 1.0
	v_fmac_f32_e32 v35, v39, v35
	v_div_scale_f32 v30, s[0:1], v10, s15, v10
	v_fma_f32 v41, -v31, v37, 1.0
	v_fmac_f32_e32 v36, v40, v36
	v_mul_f32_e32 v39, v28, v35
	v_div_scale_f32 v32, s[2:3], v26, s15, v26
	v_fmac_f32_e32 v37, v41, v37
	v_mul_f32_e32 v40, v30, v36
	v_fma_f32 v43, -v27, v39, v28
	v_fma_f32 v42, -v33, v38, 1.0
	v_mul_f32_e32 v41, v32, v37
	v_fma_f32 v44, -v29, v40, v30
	v_fmac_f32_e32 v39, v43, v35
	v_div_scale_f32 v34, s[4:5], v11, s15, v11
	v_fmac_f32_e32 v38, v42, v38
	v_fma_f32 v45, -v31, v41, v32
	v_fmac_f32_e32 v40, v44, v36
	v_fma_f32 v27, -v27, v39, v28
	v_mul_f32_e32 v42, v34, v38
	v_fmac_f32_e32 v41, v45, v37
	v_fma_f32 v28, -v29, v40, v30
	v_div_fmas_f32 v27, v27, v35, v39
	s_mov_b64 vcc, s[0:1]
	v_fma_f32 v46, -v33, v42, v34
	v_fma_f32 v29, -v31, v41, v32
	v_div_fixup_f32 v25, v27, s15, v25
	v_div_fmas_f32 v27, v28, v36, v40
	s_mov_b64 vcc, s[2:3]
	v_fmac_f32_e32 v42, v46, v38
	v_med3_f32 v28, v25, s51, v22
	v_div_fixup_f32 v10, v27, s15, v10
	v_div_fmas_f32 v27, v29, v37, v41
	v_cmp_nlg_f32_e64 vcc, |v25|, s50
	v_fma_f32 v30, -v33, v42, v34
	v_div_fixup_f32 v26, v27, s15, v26
	v_cndmask_b32_e32 v25, v28, v25, vcc
	s_mov_b64 vcc, s[4:5]
	v_med3_f32 v28, v10, s51, v22
	v_div_fmas_f32 v27, v30, v38, v42
	v_cmp_nlg_f32_e64 vcc, |v10|, s50
	v_cvt_pk_fp8_f32 v6, v25, v25
	v_med3_f32 v25, v26, s51, v22
	v_cndmask_b32_e32 v10, v28, v10, vcc
	v_div_fixup_f32 v11, v27, s15, v11
	v_cmp_nlg_f32_e64 vcc, |v26|, s50
	v_cvt_pk_fp8_f32 v20, v10, v10
	s_nop 0
	v_cndmask_b32_e32 v10, v25, v26, vcc
	v_med3_f32 v25, v11, s51, v22
	v_cmp_nlg_f32_e64 vcc, |v11|, s50
	v_cvt_pk_fp8_f32 v21, v10, v10
	s_nop 0
	v_cndmask_b32_e32 v10, v25, v11, vcc
	v_cvt_pk_fp8_f32 v24, v10, v10
	global_store_byte v[12:13], v6, off
	global_store_byte v[14:15], v20, off
	;; [unrolled: 1-line block ×4, first 2 shown]
	s_cbranch_scc0 .LBB1_25
.LBB1_26:                               ;   in Loop: Header=BB1_7 Depth=1
	s_andn2_b64 vcc, exec, s[30:31]
	s_cbranch_vccnz .LBB1_6
; %bb.27:                               ;   in Loop: Header=BB1_7 Depth=1
	s_lshl_b32 s0, s54, 1
	s_add_u32 s0, s48, s0
	s_addc_u32 s1, s49, 0
	v_lshl_add_u64 v[4:5], s[0:1], 0, v[4:5]
	s_mul_i32 s0, s12, s54
	s_mov_b32 s2, s40
.LBB1_28:                               ;   Parent Loop BB1_7 Depth=1
                                        ; =>  This Inner Loop Header: Depth=2
	global_load_ushort v6, v[4:5], off
	v_mov_b32_e32 v10, 0
	s_ashr_i32 s1, s0, 31
	s_add_i32 s2, s2, -1
	v_lshl_add_u64 v[4:5], v[4:5], 0, 2
	s_waitcnt vmcnt(0)
	v_lshlrev_b32_e32 v6, 16, v6
	v_div_scale_f32 v8, s[4:5], s15, s15, v6
	v_rcp_f32_e32 v9, v8
	v_div_scale_f32 v11, vcc, v6, s15, v6
	v_fma_f32 v12, -v8, v9, 1.0
	v_fmac_f32_e32 v9, v12, v9
	v_mul_f32_e32 v12, v11, v9
	v_fma_f32 v13, -v8, v12, v11
	v_fmac_f32_e32 v12, v13, v9
	v_fma_f32 v8, -v8, v12, v11
	v_div_fmas_f32 v8, v8, v9, v12
	v_div_fixup_f32 v6, v8, s15, v6
	v_med3_f32 v8, v6, s51, v22
	v_cmp_nlg_f32_e64 vcc, |v6|, s50
	s_nop 1
	v_cndmask_b32_e32 v6, v8, v6, vcc
	v_cvt_pk_fp8_f32 v10, v6, v6
	v_lshl_add_u64 v[8:9], v[2:3], 0, s[0:1]
	s_add_i32 s0, s0, s12
	s_cmp_lg_u32 s2, 0
	global_store_byte v[8:9], v10, off
	s_cbranch_scc1 .LBB1_28
	s_branch .LBB1_6
.LBB1_29:
	s_endpgm
.LBB1_30:
                                        ; implicit-def: $sgpr4_sgpr5
	s_branch .LBB1_3
	.section	.rodata,"a",@progbits
	.p2align	6, 0x0
	.amdhsa_kernel _Z24reshape_and_cache_kernelI14__hip_bfloat16hL18Fp8KVCacheDataType1EEvPKT_S4_PT0_S6_PKliiiiiiff
		.amdhsa_group_segment_fixed_size 0
		.amdhsa_private_segment_fixed_size 0
		.amdhsa_kernarg_size 328
		.amdhsa_user_sgpr_count 2
		.amdhsa_user_sgpr_dispatch_ptr 0
		.amdhsa_user_sgpr_queue_ptr 0
		.amdhsa_user_sgpr_kernarg_segment_ptr 1
		.amdhsa_user_sgpr_dispatch_id 0
		.amdhsa_user_sgpr_kernarg_preload_length 0
		.amdhsa_user_sgpr_kernarg_preload_offset 0
		.amdhsa_user_sgpr_private_segment_size 0
		.amdhsa_uses_dynamic_stack 0
		.amdhsa_enable_private_segment 0
		.amdhsa_system_sgpr_workgroup_id_x 1
		.amdhsa_system_sgpr_workgroup_id_y 0
		.amdhsa_system_sgpr_workgroup_id_z 0
		.amdhsa_system_sgpr_workgroup_info 0
		.amdhsa_system_vgpr_workitem_id 0
		.amdhsa_next_free_vgpr 47
		.amdhsa_next_free_sgpr 55
		.amdhsa_accum_offset 48
		.amdhsa_reserve_vcc 1
		.amdhsa_float_round_mode_32 0
		.amdhsa_float_round_mode_16_64 0
		.amdhsa_float_denorm_mode_32 3
		.amdhsa_float_denorm_mode_16_64 3
		.amdhsa_dx10_clamp 1
		.amdhsa_ieee_mode 1
		.amdhsa_fp16_overflow 0
		.amdhsa_tg_split 0
		.amdhsa_exception_fp_ieee_invalid_op 0
		.amdhsa_exception_fp_denorm_src 0
		.amdhsa_exception_fp_ieee_div_zero 0
		.amdhsa_exception_fp_ieee_overflow 0
		.amdhsa_exception_fp_ieee_underflow 0
		.amdhsa_exception_fp_ieee_inexact 0
		.amdhsa_exception_int_div_zero 0
	.end_amdhsa_kernel
	.section	.text._Z24reshape_and_cache_kernelI14__hip_bfloat16hL18Fp8KVCacheDataType1EEvPKT_S4_PT0_S6_PKliiiiiiff,"axG",@progbits,_Z24reshape_and_cache_kernelI14__hip_bfloat16hL18Fp8KVCacheDataType1EEvPKT_S4_PT0_S6_PKliiiiiiff,comdat
.Lfunc_end1:
	.size	_Z24reshape_and_cache_kernelI14__hip_bfloat16hL18Fp8KVCacheDataType1EEvPKT_S4_PT0_S6_PKliiiiiiff, .Lfunc_end1-_Z24reshape_and_cache_kernelI14__hip_bfloat16hL18Fp8KVCacheDataType1EEvPKT_S4_PT0_S6_PKliiiiiiff
                                        ; -- End function
	.section	.AMDGPU.csdata,"",@progbits
; Kernel info:
; codeLenInByte = 5164
; NumSgprs: 61
; NumVgprs: 47
; NumAgprs: 0
; TotalNumVgprs: 47
; ScratchSize: 0
; MemoryBound: 0
; FloatMode: 240
; IeeeMode: 1
; LDSByteSize: 0 bytes/workgroup (compile time only)
; SGPRBlocks: 7
; VGPRBlocks: 5
; NumSGPRsForWavesPerEU: 61
; NumVGPRsForWavesPerEU: 47
; AccumOffset: 48
; Occupancy: 8
; WaveLimiterHint : 0
; COMPUTE_PGM_RSRC2:SCRATCH_EN: 0
; COMPUTE_PGM_RSRC2:USER_SGPR: 2
; COMPUTE_PGM_RSRC2:TRAP_HANDLER: 0
; COMPUTE_PGM_RSRC2:TGID_X_EN: 1
; COMPUTE_PGM_RSRC2:TGID_Y_EN: 0
; COMPUTE_PGM_RSRC2:TGID_Z_EN: 0
; COMPUTE_PGM_RSRC2:TIDIG_COMP_CNT: 0
; COMPUTE_PGM_RSRC3_GFX90A:ACCUM_OFFSET: 11
; COMPUTE_PGM_RSRC3_GFX90A:TG_SPLIT: 0
	.text
	.p2alignl 6, 3212836864
	.fill 256, 4, 3212836864
	.type	__hip_cuid_8d01bfda4911db7c,@object ; @__hip_cuid_8d01bfda4911db7c
	.section	.bss,"aw",@nobits
	.globl	__hip_cuid_8d01bfda4911db7c
__hip_cuid_8d01bfda4911db7c:
	.byte	0                               ; 0x0
	.size	__hip_cuid_8d01bfda4911db7c, 1

	.ident	"AMD clang version 19.0.0git (https://github.com/RadeonOpenCompute/llvm-project roc-6.4.0 25133 c7fe45cf4b819c5991fe208aaa96edf142730f1d)"
	.section	".note.GNU-stack","",@progbits
	.addrsig
	.addrsig_sym __hip_cuid_8d01bfda4911db7c
	.amdgpu_metadata
---
amdhsa.kernels:
  - .agpr_count:     0
    .args:
      - .address_space:  global
        .offset:         0
        .size:           8
        .value_kind:     global_buffer
      - .actual_access:  read_only
        .address_space:  global
        .offset:         8
        .size:           8
        .value_kind:     global_buffer
      - .actual_access:  write_only
        .address_space:  global
        .offset:         16
        .size:           8
        .value_kind:     global_buffer
      - .actual_access:  write_only
        .address_space:  global
        .offset:         24
        .size:           8
        .value_kind:     global_buffer
      - .actual_access:  read_only
        .address_space:  global
        .offset:         32
        .size:           8
        .value_kind:     global_buffer
      - .offset:         40
        .size:           4
        .value_kind:     by_value
      - .offset:         44
        .size:           4
        .value_kind:     by_value
      - .offset:         48
        .size:           4
        .value_kind:     by_value
      - .offset:         52
        .size:           4
        .value_kind:     by_value
      - .offset:         56
        .size:           4
        .value_kind:     by_value
      - .offset:         60
        .size:           4
        .value_kind:     by_value
      - .offset:         64
        .size:           4
        .value_kind:     by_value
      - .offset:         68
        .size:           4
        .value_kind:     by_value
      - .offset:         72
        .size:           4
        .value_kind:     hidden_block_count_x
      - .offset:         76
        .size:           4
        .value_kind:     hidden_block_count_y
      - .offset:         80
        .size:           4
        .value_kind:     hidden_block_count_z
      - .offset:         84
        .size:           2
        .value_kind:     hidden_group_size_x
      - .offset:         86
        .size:           2
        .value_kind:     hidden_group_size_y
      - .offset:         88
        .size:           2
        .value_kind:     hidden_group_size_z
      - .offset:         90
        .size:           2
        .value_kind:     hidden_remainder_x
      - .offset:         92
        .size:           2
        .value_kind:     hidden_remainder_y
      - .offset:         94
        .size:           2
        .value_kind:     hidden_remainder_z
      - .offset:         112
        .size:           8
        .value_kind:     hidden_global_offset_x
      - .offset:         120
        .size:           8
        .value_kind:     hidden_global_offset_y
      - .offset:         128
        .size:           8
        .value_kind:     hidden_global_offset_z
      - .offset:         136
        .size:           2
        .value_kind:     hidden_grid_dims
    .group_segment_fixed_size: 0
    .kernarg_segment_align: 8
    .kernarg_segment_size: 328
    .language:       OpenCL C
    .language_version:
      - 2
      - 0
    .max_flat_workgroup_size: 1024
    .name:           _Z24reshape_and_cache_kernelIfhL18Fp8KVCacheDataType1EEvPKT_S3_PT0_S5_PKliiiiiiff
    .private_segment_fixed_size: 0
    .sgpr_count:     67
    .sgpr_spill_count: 0
    .symbol:         _Z24reshape_and_cache_kernelIfhL18Fp8KVCacheDataType1EEvPKT_S3_PT0_S5_PKliiiiiiff.kd
    .uniform_work_group_size: 1
    .uses_dynamic_stack: false
    .vgpr_count:     49
    .vgpr_spill_count: 0
    .wavefront_size: 64
  - .agpr_count:     0
    .args:
      - .address_space:  global
        .offset:         0
        .size:           8
        .value_kind:     global_buffer
      - .actual_access:  read_only
        .address_space:  global
        .offset:         8
        .size:           8
        .value_kind:     global_buffer
      - .actual_access:  write_only
        .address_space:  global
        .offset:         16
        .size:           8
        .value_kind:     global_buffer
      - .actual_access:  write_only
        .address_space:  global
        .offset:         24
        .size:           8
        .value_kind:     global_buffer
      - .actual_access:  read_only
        .address_space:  global
        .offset:         32
        .size:           8
        .value_kind:     global_buffer
      - .offset:         40
        .size:           4
        .value_kind:     by_value
      - .offset:         44
        .size:           4
        .value_kind:     by_value
      - .offset:         48
        .size:           4
        .value_kind:     by_value
      - .offset:         52
        .size:           4
        .value_kind:     by_value
      - .offset:         56
        .size:           4
        .value_kind:     by_value
      - .offset:         60
        .size:           4
        .value_kind:     by_value
      - .offset:         64
        .size:           4
        .value_kind:     by_value
      - .offset:         68
        .size:           4
        .value_kind:     by_value
      - .offset:         72
        .size:           4
        .value_kind:     hidden_block_count_x
      - .offset:         76
        .size:           4
        .value_kind:     hidden_block_count_y
      - .offset:         80
        .size:           4
        .value_kind:     hidden_block_count_z
      - .offset:         84
        .size:           2
        .value_kind:     hidden_group_size_x
      - .offset:         86
        .size:           2
        .value_kind:     hidden_group_size_y
      - .offset:         88
        .size:           2
        .value_kind:     hidden_group_size_z
      - .offset:         90
        .size:           2
        .value_kind:     hidden_remainder_x
      - .offset:         92
        .size:           2
        .value_kind:     hidden_remainder_y
      - .offset:         94
        .size:           2
        .value_kind:     hidden_remainder_z
      - .offset:         112
        .size:           8
        .value_kind:     hidden_global_offset_x
      - .offset:         120
        .size:           8
        .value_kind:     hidden_global_offset_y
      - .offset:         128
        .size:           8
        .value_kind:     hidden_global_offset_z
      - .offset:         136
        .size:           2
        .value_kind:     hidden_grid_dims
    .group_segment_fixed_size: 0
    .kernarg_segment_align: 8
    .kernarg_segment_size: 328
    .language:       OpenCL C
    .language_version:
      - 2
      - 0
    .max_flat_workgroup_size: 1024
    .name:           _Z24reshape_and_cache_kernelI14__hip_bfloat16hL18Fp8KVCacheDataType1EEvPKT_S4_PT0_S6_PKliiiiiiff
    .private_segment_fixed_size: 0
    .sgpr_count:     61
    .sgpr_spill_count: 0
    .symbol:         _Z24reshape_and_cache_kernelI14__hip_bfloat16hL18Fp8KVCacheDataType1EEvPKT_S4_PT0_S6_PKliiiiiiff.kd
    .uniform_work_group_size: 1
    .uses_dynamic_stack: false
    .vgpr_count:     47
    .vgpr_spill_count: 0
    .wavefront_size: 64
amdhsa.target:   amdgcn-amd-amdhsa--gfx942
amdhsa.version:
  - 1
  - 2
...

	.end_amdgpu_metadata
